;; amdgpu-corpus repo=ROCm/rocFFT kind=compiled arch=gfx1100 opt=O3
	.text
	.amdgcn_target "amdgcn-amd-amdhsa--gfx1100"
	.amdhsa_code_object_version 6
	.protected	bluestein_single_fwd_len1352_dim1_dp_op_CI_CI ; -- Begin function bluestein_single_fwd_len1352_dim1_dp_op_CI_CI
	.globl	bluestein_single_fwd_len1352_dim1_dp_op_CI_CI
	.p2align	8
	.type	bluestein_single_fwd_len1352_dim1_dp_op_CI_CI,@function
bluestein_single_fwd_len1352_dim1_dp_op_CI_CI: ; @bluestein_single_fwd_len1352_dim1_dp_op_CI_CI
; %bb.0:
	s_load_b128 s[16:19], s[0:1], 0x28
	v_mul_u32_u24_e32 v1, 0x4ed, v0
	s_mov_b32 s2, exec_lo
	v_mov_b32_e32 v252, 0
	s_delay_alu instid0(VALU_DEP_2) | instskip(NEXT) | instid1(VALU_DEP_1)
	v_lshrrev_b32_e32 v1, 16, v1
	v_add_nc_u32_e32 v251, s15, v1
	s_waitcnt lgkmcnt(0)
	s_delay_alu instid0(VALU_DEP_1)
	v_cmpx_gt_u64_e64 s[16:17], v[251:252]
	s_cbranch_execz .LBB0_12
; %bb.1:
	s_clause 0x2
	s_load_b128 s[8:11], s[0:1], 0x0
	s_load_b128 s[20:23], s[0:1], 0x18
	s_load_b64 s[12:13], s[0:1], 0x38
	v_mul_lo_u16 v1, v1, 52
	s_mov_b32 s48, 0x4267c47c
	s_mov_b32 s34, 0x42a4c3d2
	;; [unrolled: 1-line block ×4, first 2 shown]
	v_sub_nc_u16 v198, v0, v1
	s_mov_b32 s30, 0x4bc48dbf
	s_mov_b32 s49, 0xbfddbe06
	;; [unrolled: 1-line block ×4, first 2 shown]
	v_lshlrev_b16 v104, 1, v198
	s_mov_b32 s27, 0xbfe5384d
	s_mov_b32 s31, 0xbfcea1e5
	;; [unrolled: 1-line block ×4, first 2 shown]
	v_and_b32_e32 v104, 0xffff, v104
	s_mov_b32 s28, 0x93053d00
	s_mov_b32 s17, 0x3fe22d96
	s_waitcnt lgkmcnt(0)
	s_load_b128 s[4:7], s[22:23], 0x0
	s_load_b128 s[0:3], s[20:21], 0x0
	s_mov_b32 s22, 0xe00740e9
	v_lshlrev_b32_e32 v244, 4, v104
	s_mov_b32 s23, 0x3fec55a7
	s_mov_b32 s25, 0xbfe7f3cc
	;; [unrolled: 1-line block ×14, first 2 shown]
	s_waitcnt lgkmcnt(0)
	v_mad_u64_u32 v[0:1], null, s2, v251, 0
	s_mul_hi_u32 s15, s0, 0xffffd900
	s_mul_i32 s14, s1, 0xffffd900
	s_sub_i32 s15, s15, s0
	s_delay_alu instid0(SALU_CYCLE_1) | instskip(SKIP_1) | instid1(VALU_DEP_1)
	s_add_i32 s14, s15, s14
	s_mul_i32 s15, s0, 0xffffd900
	v_mad_u64_u32 v[2:3], null, s3, v251, v[1:2]
	v_and_b32_e32 v240, 0xffff, v198
	s_mul_hi_u32 s3, s0, 0x2a40
	s_delay_alu instid0(VALU_DEP_2) | instskip(NEXT) | instid1(VALU_DEP_2)
	v_mov_b32_e32 v1, v2
	v_mad_u64_u32 v[2:3], null, s0, v240, 0
	v_and_b32_e32 v196, 1, v240
	v_add_co_u32 v200, null, v240, 52
	s_delay_alu instid0(VALU_DEP_4) | instskip(SKIP_1) | instid1(VALU_DEP_4)
	v_lshlrev_b64 v[0:1], 4, v[0:1]
	v_add_nc_u32_e32 v199, 0x138, v240
	v_mul_u32_u24_e32 v104, 12, v196
	v_mad_u64_u32 v[4:5], null, s1, v240, v[3:4]
	v_lshlrev_b32_e32 v239, 5, v240
	v_add_co_u32 v16, vcc_lo, s18, v0
	v_add_co_ci_u32_e32 v17, vcc_lo, s19, v1, vcc_lo
	s_delay_alu instid0(VALU_DEP_4)
	v_dual_mov_b32 v3, v4 :: v_dual_lshlrev_b32 v234, 4, v240
	v_lshlrev_b32_e32 v243, 5, v200
	v_lshlrev_b32_e32 v148, 4, v104
	;; [unrolled: 1-line block ×3, first 2 shown]
	global_load_b128 v[12:15], v234, s[8:9]
	v_lshlrev_b64 v[0:1], 4, v[2:3]
	v_add_co_u32 v4, s2, s8, v234
	s_delay_alu instid0(VALU_DEP_1) | instskip(SKIP_1) | instid1(VALU_DEP_3)
	v_add_co_ci_u32_e64 v5, null, s9, 0, s2
	s_mul_i32 s2, s1, 0x2a40
	v_add_co_u32 v10, vcc_lo, v16, v0
	s_delay_alu instid0(VALU_DEP_4)
	v_add_co_ci_u32_e32 v11, vcc_lo, v17, v1, vcc_lo
	s_add_i32 s2, s3, s2
	s_mul_i32 s3, s0, 0x2a40
	s_mov_b32 s18, 0x2ef20147
	global_load_b128 v[0:3], v[10:11], off
	s_mov_b32 s19, 0xbfedeba7
	s_mov_b32 s46, s18
	v_add_co_u32 v218, null, 0xffffffe6, v240
	s_waitcnt vmcnt(1)
	scratch_store_b128 off, v[12:15], off offset:36 ; 16-byte Folded Spill
	s_waitcnt vmcnt(0)
	v_mul_f64 v[6:7], v[2:3], v[14:15]
	s_delay_alu instid0(VALU_DEP_1) | instskip(SKIP_1) | instid1(VALU_DEP_1)
	v_fma_f64 v[6:7], v[0:1], v[12:13], v[6:7]
	v_mul_f64 v[0:1], v[0:1], v[14:15]
	v_fma_f64 v[8:9], v[2:3], v[12:13], -v[0:1]
	v_add_co_u32 v2, vcc_lo, v10, s3
	v_add_co_ci_u32_e32 v3, vcc_lo, s2, v11, vcc_lo
	v_add_co_u32 v0, vcc_lo, 0x2000, v4
	v_add_co_ci_u32_e32 v1, vcc_lo, 0, v5, vcc_lo
	global_load_b128 v[12:15], v[0:1], off offset:2624
	ds_store_b128 v234, v[6:9]
	global_load_b128 v[6:9], v[2:3], off
	v_add_co_u32 v2, vcc_lo, v2, s15
	v_add_co_ci_u32_e32 v3, vcc_lo, s14, v3, vcc_lo
	s_waitcnt vmcnt(1)
	scratch_store_b128 off, v[12:15], off offset:52 ; 16-byte Folded Spill
	s_waitcnt vmcnt(0)
	v_mul_f64 v[10:11], v[8:9], v[14:15]
	s_delay_alu instid0(VALU_DEP_1) | instskip(SKIP_1) | instid1(VALU_DEP_1)
	v_fma_f64 v[10:11], v[6:7], v[12:13], v[10:11]
	v_mul_f64 v[6:7], v[6:7], v[14:15]
	v_fma_f64 v[12:13], v[8:9], v[12:13], -v[6:7]
	ds_store_b128 v234, v[10:13] offset:10816
	global_load_b128 v[6:9], v[2:3], off
	global_load_b128 v[12:15], v234, s[8:9] offset:832
	v_add_co_u32 v2, vcc_lo, v2, s3
	v_add_co_ci_u32_e32 v3, vcc_lo, s2, v3, vcc_lo
	s_waitcnt vmcnt(0)
	v_mul_f64 v[10:11], v[8:9], v[14:15]
	scratch_store_b128 off, v[12:15], off offset:100 ; 16-byte Folded Spill
	v_fma_f64 v[10:11], v[6:7], v[12:13], v[10:11]
	v_mul_f64 v[6:7], v[6:7], v[14:15]
	s_delay_alu instid0(VALU_DEP_1)
	v_fma_f64 v[12:13], v[8:9], v[12:13], -v[6:7]
	ds_store_b128 v234, v[10:13] offset:832
	global_load_b128 v[6:9], v[2:3], off
	global_load_b128 v[12:15], v[0:1], off offset:3456
	v_add_co_u32 v2, vcc_lo, v2, s15
	v_add_co_ci_u32_e32 v3, vcc_lo, s14, v3, vcc_lo
	s_waitcnt vmcnt(0)
	v_mul_f64 v[10:11], v[8:9], v[14:15]
	scratch_store_b128 off, v[12:15], off offset:68 ; 16-byte Folded Spill
	v_fma_f64 v[10:11], v[6:7], v[12:13], v[10:11]
	v_mul_f64 v[6:7], v[6:7], v[14:15]
	s_delay_alu instid0(VALU_DEP_1)
	v_fma_f64 v[12:13], v[8:9], v[12:13], -v[6:7]
	ds_store_b128 v234, v[10:13] offset:11648
	global_load_b128 v[6:9], v[2:3], off
	global_load_b128 v[12:15], v234, s[8:9] offset:1664
	s_waitcnt vmcnt(0)
	v_mul_f64 v[10:11], v[8:9], v[14:15]
	scratch_store_b128 off, v[12:15], off offset:84 ; 16-byte Folded Spill
	v_fma_f64 v[10:11], v[6:7], v[12:13], v[10:11]
	v_mul_f64 v[6:7], v[6:7], v[14:15]
	v_add_co_u32 v14, vcc_lo, v2, s3
	v_add_co_ci_u32_e32 v15, vcc_lo, s2, v3, vcc_lo
	v_add_co_u32 v2, vcc_lo, 0x3000, v4
	v_add_co_ci_u32_e32 v3, vcc_lo, 0, v5, vcc_lo
	global_load_b128 v[18:21], v[2:3], off offset:192
	v_fma_f64 v[12:13], v[8:9], v[12:13], -v[6:7]
	global_load_b128 v[6:9], v[14:15], off
	v_add_co_u32 v14, vcc_lo, v14, s15
	v_add_co_ci_u32_e32 v15, vcc_lo, s14, v15, vcc_lo
	ds_store_b128 v234, v[10:13] offset:1664
	s_waitcnt vmcnt(1)
	scratch_store_b128 off, v[18:21], off offset:116 ; 16-byte Folded Spill
	s_waitcnt vmcnt(0)
	v_mul_f64 v[10:11], v[8:9], v[20:21]
	s_delay_alu instid0(VALU_DEP_1) | instskip(SKIP_1) | instid1(VALU_DEP_1)
	v_fma_f64 v[10:11], v[6:7], v[18:19], v[10:11]
	v_mul_f64 v[6:7], v[6:7], v[20:21]
	v_fma_f64 v[12:13], v[8:9], v[18:19], -v[6:7]
	ds_store_b128 v234, v[10:13] offset:12480
	global_load_b128 v[6:9], v[14:15], off
	global_load_b128 v[18:21], v234, s[8:9] offset:2496
	s_waitcnt vmcnt(0)
	v_mul_f64 v[10:11], v[8:9], v[20:21]
	s_delay_alu instid0(VALU_DEP_1) | instskip(SKIP_1) | instid1(VALU_DEP_1)
	v_fma_f64 v[10:11], v[6:7], v[18:19], v[10:11]
	v_mul_f64 v[6:7], v[6:7], v[20:21]
	v_fma_f64 v[12:13], v[8:9], v[18:19], -v[6:7]
	ds_store_b128 v234, v[10:13] offset:2496
	v_or_b32_e32 v10, 0x340, v240
	s_clause 0x1
	scratch_store_b128 off, v[18:21], off offset:132
	scratch_store_b32 off, v10, off offset:148
	v_mad_u64_u32 v[6:7], null, s0, v10, 0
	v_lshlrev_b32_e32 v242, 4, v10
	s_delay_alu instid0(VALU_DEP_2) | instskip(NEXT) | instid1(VALU_DEP_1)
	v_mad_u64_u32 v[8:9], null, s1, v10, v[7:8]
	v_mov_b32_e32 v7, v8
	s_delay_alu instid0(VALU_DEP_1) | instskip(NEXT) | instid1(VALU_DEP_1)
	v_lshlrev_b64 v[6:7], 4, v[6:7]
	v_add_co_u32 v6, vcc_lo, v16, v6
	s_delay_alu instid0(VALU_DEP_2)
	v_add_co_ci_u32_e32 v7, vcc_lo, v17, v7, vcc_lo
	global_load_b128 v[16:19], v242, s[8:9]
	global_load_b128 v[6:9], v[6:7], off
	s_waitcnt vmcnt(1)
	scratch_store_b128 off, v[16:19], off offset:152 ; 16-byte Folded Spill
	s_waitcnt vmcnt(0)
	v_mul_f64 v[10:11], v[8:9], v[18:19]
	s_delay_alu instid0(VALU_DEP_1) | instskip(SKIP_1) | instid1(VALU_DEP_1)
	v_fma_f64 v[10:11], v[6:7], v[16:17], v[10:11]
	v_mul_f64 v[6:7], v[6:7], v[18:19]
	v_fma_f64 v[12:13], v[8:9], v[16:17], -v[6:7]
	v_mad_u64_u32 v[16:17], null, 0x340, s0, v[14:15]
	s_delay_alu instid0(VALU_DEP_1) | instskip(NEXT) | instid1(VALU_DEP_1)
	v_mov_b32_e32 v6, v17
	v_mad_u64_u32 v[7:8], null, 0x340, s1, v[6:7]
	s_delay_alu instid0(VALU_DEP_1)
	v_mov_b32_e32 v17, v7
	ds_store_b128 v234, v[10:13] offset:13312
	global_load_b128 v[6:9], v[16:17], off
	global_load_b128 v[12:15], v234, s[8:9] offset:3328
	s_waitcnt vmcnt(0)
	v_mul_f64 v[10:11], v[8:9], v[14:15]
	scratch_store_b128 off, v[12:15], off offset:168 ; 16-byte Folded Spill
	v_fma_f64 v[10:11], v[6:7], v[12:13], v[10:11]
	v_mul_f64 v[6:7], v[6:7], v[14:15]
	v_add_co_u32 v14, vcc_lo, v16, s3
	v_add_co_ci_u32_e32 v15, vcc_lo, s2, v17, vcc_lo
	s_delay_alu instid0(VALU_DEP_3)
	v_fma_f64 v[12:13], v[8:9], v[12:13], -v[6:7]
	ds_store_b128 v234, v[10:13] offset:3328
	global_load_b128 v[6:9], v[14:15], off
	global_load_b128 v[16:19], v[2:3], off offset:1856
	v_add_co_u32 v14, vcc_lo, v14, s15
	v_add_co_ci_u32_e32 v15, vcc_lo, s14, v15, vcc_lo
	s_waitcnt vmcnt(0)
	v_mul_f64 v[10:11], v[8:9], v[18:19]
	scratch_store_b128 off, v[16:19], off offset:184 ; 16-byte Folded Spill
	v_fma_f64 v[10:11], v[6:7], v[16:17], v[10:11]
	v_mul_f64 v[6:7], v[6:7], v[18:19]
	s_delay_alu instid0(VALU_DEP_1)
	v_fma_f64 v[12:13], v[8:9], v[16:17], -v[6:7]
	v_add_co_u32 v16, vcc_lo, 0x1000, v4
	v_add_co_ci_u32_e32 v17, vcc_lo, 0, v5, vcc_lo
	global_load_b128 v[6:9], v[14:15], off
	v_add_co_u32 v14, vcc_lo, v14, s3
	global_load_b128 v[18:21], v[16:17], off offset:64
	v_add_co_ci_u32_e32 v15, vcc_lo, s2, v15, vcc_lo
	ds_store_b128 v234, v[10:13] offset:14144
	s_waitcnt vmcnt(0)
	v_mul_f64 v[10:11], v[8:9], v[20:21]
	scratch_store_b128 off, v[18:21], off offset:248 ; 16-byte Folded Spill
	v_fma_f64 v[10:11], v[6:7], v[18:19], v[10:11]
	v_mul_f64 v[6:7], v[6:7], v[20:21]
	s_delay_alu instid0(VALU_DEP_1)
	v_fma_f64 v[12:13], v[8:9], v[18:19], -v[6:7]
	ds_store_b128 v234, v[10:13] offset:4160
	global_load_b128 v[6:9], v[14:15], off
	global_load_b128 v[18:21], v[2:3], off offset:2688
	v_add_co_u32 v14, vcc_lo, v14, s15
	v_add_co_ci_u32_e32 v15, vcc_lo, s14, v15, vcc_lo
	s_waitcnt vmcnt(0)
	v_mul_f64 v[10:11], v[8:9], v[20:21]
	scratch_store_b128 off, v[18:21], off offset:200 ; 16-byte Folded Spill
	v_fma_f64 v[10:11], v[6:7], v[18:19], v[10:11]
	v_mul_f64 v[6:7], v[6:7], v[20:21]
	s_delay_alu instid0(VALU_DEP_1)
	v_fma_f64 v[12:13], v[8:9], v[18:19], -v[6:7]
	ds_store_b128 v234, v[10:13] offset:14976
	global_load_b128 v[6:9], v[14:15], off
	global_load_b128 v[18:21], v[16:17], off offset:896
	v_add_co_u32 v14, vcc_lo, v14, s3
	v_add_co_ci_u32_e32 v15, vcc_lo, s2, v15, vcc_lo
	s_waitcnt vmcnt(0)
	v_mul_f64 v[10:11], v[8:9], v[20:21]
	scratch_store_b128 off, v[18:21], off offset:216 ; 16-byte Folded Spill
	v_fma_f64 v[10:11], v[6:7], v[18:19], v[10:11]
	v_mul_f64 v[6:7], v[6:7], v[20:21]
	s_delay_alu instid0(VALU_DEP_1)
	v_fma_f64 v[12:13], v[8:9], v[18:19], -v[6:7]
	ds_store_b128 v234, v[10:13] offset:4992
	global_load_b128 v[6:9], v[14:15], off
	global_load_b128 v[18:21], v[2:3], off offset:3520
	s_waitcnt vmcnt(0)
	v_mul_f64 v[2:3], v[8:9], v[20:21]
	scratch_store_b128 off, v[18:21], off offset:232 ; 16-byte Folded Spill
	v_fma_f64 v[10:11], v[6:7], v[18:19], v[2:3]
	v_mul_f64 v[2:3], v[6:7], v[20:21]
	s_delay_alu instid0(VALU_DEP_1)
	v_fma_f64 v[12:13], v[8:9], v[18:19], -v[2:3]
	v_add_co_u32 v2, vcc_lo, v14, s15
	v_add_co_ci_u32_e32 v3, vcc_lo, s14, v15, vcc_lo
	ds_store_b128 v234, v[10:13] offset:15808
	global_load_b128 v[6:9], v[2:3], off
	global_load_b128 v[12:15], v[16:17], off offset:1728
	v_add_co_u32 v2, vcc_lo, v2, s3
	v_add_co_ci_u32_e32 v3, vcc_lo, s2, v3, vcc_lo
	s_waitcnt vmcnt(0)
	v_mul_f64 v[10:11], v[8:9], v[14:15]
	scratch_store_b128 off, v[12:15], off offset:264 ; 16-byte Folded Spill
	v_fma_f64 v[10:11], v[6:7], v[12:13], v[10:11]
	v_mul_f64 v[6:7], v[6:7], v[14:15]
	v_add_co_u32 v14, vcc_lo, 0x4000, v4
	v_add_co_ci_u32_e32 v15, vcc_lo, 0, v5, vcc_lo
	global_load_b128 v[18:21], v[14:15], off offset:256
	v_fma_f64 v[12:13], v[8:9], v[12:13], -v[6:7]
	global_load_b128 v[6:9], v[2:3], off
	v_add_co_u32 v2, vcc_lo, v2, s15
	v_add_co_ci_u32_e32 v3, vcc_lo, s14, v3, vcc_lo
	ds_store_b128 v234, v[10:13] offset:5824
	s_waitcnt vmcnt(1)
	scratch_store_b128 off, v[18:21], off offset:280 ; 16-byte Folded Spill
	s_waitcnt vmcnt(0)
	v_mul_f64 v[10:11], v[8:9], v[20:21]
	s_delay_alu instid0(VALU_DEP_1) | instskip(SKIP_1) | instid1(VALU_DEP_1)
	v_fma_f64 v[10:11], v[6:7], v[18:19], v[10:11]
	v_mul_f64 v[6:7], v[6:7], v[20:21]
	v_fma_f64 v[12:13], v[8:9], v[18:19], -v[6:7]
	ds_store_b128 v234, v[10:13] offset:16640
	global_load_b128 v[6:9], v[2:3], off
	global_load_b128 v[18:21], v[16:17], off offset:2560
	v_add_co_u32 v2, vcc_lo, v2, s3
	v_add_co_ci_u32_e32 v3, vcc_lo, s2, v3, vcc_lo
	s_waitcnt vmcnt(0)
	v_mul_f64 v[10:11], v[8:9], v[20:21]
	scratch_store_b128 off, v[18:21], off offset:296 ; 16-byte Folded Spill
	v_fma_f64 v[10:11], v[6:7], v[18:19], v[10:11]
	v_mul_f64 v[6:7], v[6:7], v[20:21]
	s_delay_alu instid0(VALU_DEP_1)
	v_fma_f64 v[12:13], v[8:9], v[18:19], -v[6:7]
	ds_store_b128 v234, v[10:13] offset:6656
	global_load_b128 v[6:9], v[2:3], off
	global_load_b128 v[18:21], v[14:15], off offset:1088
	v_add_co_u32 v2, vcc_lo, v2, s15
	v_add_co_ci_u32_e32 v3, vcc_lo, s14, v3, vcc_lo
	s_waitcnt vmcnt(0)
	v_mul_f64 v[10:11], v[8:9], v[20:21]
	scratch_store_b128 off, v[18:21], off offset:312 ; 16-byte Folded Spill
	v_fma_f64 v[10:11], v[6:7], v[18:19], v[10:11]
	v_mul_f64 v[6:7], v[6:7], v[20:21]
	s_delay_alu instid0(VALU_DEP_1)
	;; [unrolled: 12-line block ×7, first 2 shown]
	v_fma_f64 v[12:13], v[8:9], v[16:17], -v[6:7]
	ds_store_b128 v234, v[10:13] offset:9152
	global_load_b128 v[6:9], v[2:3], off
	global_load_b128 v[12:15], v[14:15], off offset:3584
	s_waitcnt vmcnt(0)
	v_mul_f64 v[10:11], v[8:9], v[14:15]
	scratch_store_b128 off, v[12:15], off offset:408 ; 16-byte Folded Spill
	v_fma_f64 v[10:11], v[6:7], v[12:13], v[10:11]
	v_mul_f64 v[6:7], v[6:7], v[14:15]
	s_delay_alu instid0(VALU_DEP_1)
	v_fma_f64 v[12:13], v[8:9], v[12:13], -v[6:7]
	ds_store_b128 v234, v[10:13] offset:19968
	v_add_co_u32 v10, vcc_lo, v2, s15
	v_add_co_ci_u32_e32 v11, vcc_lo, s14, v3, vcc_lo
	global_load_b128 v[6:9], v[10:11], off
	global_load_b128 v[12:15], v[0:1], off offset:1792
	s_mov_b32 s14, 0xb2365da1
	s_mov_b32 s15, 0xbfd6b1d8
	s_waitcnt vmcnt(0)
	v_mul_f64 v[0:1], v[8:9], v[14:15]
	v_mul_f64 v[2:3], v[6:7], v[14:15]
	s_delay_alu instid0(VALU_DEP_2) | instskip(NEXT) | instid1(VALU_DEP_2)
	v_fma_f64 v[0:1], v[6:7], v[12:13], v[0:1]
	v_fma_f64 v[2:3], v[8:9], v[12:13], -v[2:3]
	ds_store_b128 v234, v[0:3] offset:9984
	v_add_co_u32 v0, vcc_lo, v10, s3
	v_add_co_ci_u32_e32 v1, vcc_lo, s2, v11, vcc_lo
	v_add_co_u32 v4, vcc_lo, 0x5000, v4
	v_add_co_ci_u32_e32 v5, vcc_lo, 0, v5, vcc_lo
	global_load_b128 v[0:3], v[0:1], off
	s_mov_b32 s2, 0xebaa3ed8
	s_mov_b32 s3, 0x3fbedb7d
	global_load_b128 v[6:9], v[4:5], off offset:320
	scratch_store_b128 off, v[12:15], off offset:424 ; 16-byte Folded Spill
	v_cmp_gt_u16_e64 vcc_lo, 26, v198
	s_waitcnt vmcnt(0)
	scratch_store_b128 off, v[6:9], off offset:440 ; 16-byte Folded Spill
	v_mul_f64 v[4:5], v[2:3], v[8:9]
	s_delay_alu instid0(VALU_DEP_1) | instskip(SKIP_1) | instid1(VALU_DEP_1)
	v_fma_f64 v[4:5], v[0:1], v[6:7], v[4:5]
	v_mul_f64 v[0:1], v[0:1], v[8:9]
	v_fma_f64 v[6:7], v[2:3], v[6:7], -v[0:1]
	ds_store_b128 v234, v[4:7] offset:20800
	s_waitcnt lgkmcnt(0)
	s_waitcnt_vscnt null, 0x0
	s_barrier
	buffer_gl0_inv
	ds_load_b128 v[0:3], v234
	ds_load_b128 v[4:7], v234 offset:10816
	ds_load_b128 v[8:11], v234 offset:832
	;; [unrolled: 1-line block ×25, first 2 shown]
	s_waitcnt lgkmcnt(24)
	v_add_f64 v[4:5], v[0:1], -v[4:5]
	v_add_f64 v[6:7], v[2:3], -v[6:7]
	s_waitcnt lgkmcnt(22)
	v_add_f64 v[12:13], v[8:9], -v[12:13]
	v_add_f64 v[14:15], v[10:11], -v[14:15]
	;; [unrolled: 3-line block ×3, first 2 shown]
	s_waitcnt lgkmcnt(18)
	v_add_f64 v[28:29], v[24:25], -v[28:29]
	s_waitcnt lgkmcnt(12)
	v_add_f64 v[52:53], v[48:49], -v[52:53]
	v_add_f64 v[54:55], v[50:51], -v[54:55]
	s_waitcnt lgkmcnt(10)
	v_add_f64 v[60:61], v[56:57], -v[60:61]
	v_add_f64 v[62:63], v[58:59], -v[62:63]
	v_add_f64 v[30:31], v[26:27], -v[30:31]
	s_waitcnt lgkmcnt(8)
	v_add_f64 v[68:69], v[64:65], -v[68:69]
	v_add_f64 v[70:71], v[66:67], -v[70:71]
	v_add_f64 v[36:37], v[32:33], -v[36:37]
	v_add_f64 v[38:39], v[34:35], -v[38:39]
	s_waitcnt lgkmcnt(6)
	v_add_f64 v[76:77], v[72:73], -v[76:77]
	;; [unrolled: 5-line block ×3, first 2 shown]
	v_add_f64 v[86:87], v[82:83], -v[86:87]
	s_waitcnt lgkmcnt(2)
	v_add_f64 v[92:93], v[88:89], -v[92:93]
	v_add_f64 v[94:95], v[90:91], -v[94:95]
	s_waitcnt lgkmcnt(0)
	v_add_f64 v[100:101], v[96:97], -v[100:101]
	v_add_f64 v[102:103], v[98:99], -v[102:103]
	s_barrier
	buffer_gl0_inv
	v_fma_f64 v[0:1], v[0:1], 2.0, -v[4:5]
	v_fma_f64 v[2:3], v[2:3], 2.0, -v[6:7]
	;; [unrolled: 1-line block ×26, first 2 shown]
	ds_store_b128 v244, v[0:3]
	ds_store_b128 v244, v[4:7] offset:16
	ds_store_b128 v243, v[8:11]
	ds_store_b128 v243, v[12:15] offset:16
	ds_store_b128 v239, v[16:19] offset:3328
	;; [unrolled: 1-line block ×23, first 2 shown]
	s_waitcnt lgkmcnt(0)
	s_barrier
	buffer_gl0_inv
	ds_load_b128 v[4:7], v234
	ds_load_b128 v[100:103], v234 offset:1664
	ds_load_b128 v[96:99], v234 offset:3328
	;; [unrolled: 1-line block ×25, first 2 shown]
	s_clause 0x3
	global_load_b128 v[104:107], v148, s[10:11] offset:48
	global_load_b128 v[108:111], v148, s[10:11] offset:32
	;; [unrolled: 1-line block ×3, first 2 shown]
	global_load_b128 v[132:135], v148, s[10:11]
	s_waitcnt vmcnt(0) lgkmcnt(24)
	v_mul_f64 v[116:117], v[102:103], v[134:135]
	s_delay_alu instid0(VALU_DEP_1)
	v_fma_f64 v[201:202], v[100:101], v[132:133], -v[116:117]
	s_clause 0x3
	global_load_b128 v[116:119], v148, s[10:11] offset:112
	global_load_b128 v[120:123], v148, s[10:11] offset:96
	;; [unrolled: 1-line block ×4, first 2 shown]
	v_mul_f64 v[100:101], v[100:101], v[134:135]
	s_clause 0x3
	global_load_b128 v[128:131], v148, s[10:11] offset:176
	global_load_b128 v[136:139], v148, s[10:11] offset:160
	;; [unrolled: 1-line block ×4, first 2 shown]
	s_waitcnt vmcnt(0) lgkmcnt(0)
	s_barrier
	buffer_gl0_inv
	v_fma_f64 v[203:204], v[102:103], v[132:133], v[100:101]
	v_mul_f64 v[100:101], v[98:99], v[114:115]
	s_delay_alu instid0(VALU_DEP_1) | instskip(SKIP_1) | instid1(VALU_DEP_1)
	v_fma_f64 v[180:181], v[96:97], v[112:113], -v[100:101]
	v_mul_f64 v[96:97], v[96:97], v[114:115]
	v_fma_f64 v[182:183], v[98:99], v[112:113], v[96:97]
	v_mul_f64 v[96:97], v[94:95], v[110:111]
	s_delay_alu instid0(VALU_DEP_1) | instskip(SKIP_1) | instid1(VALU_DEP_1)
	v_fma_f64 v[174:175], v[92:93], v[108:109], -v[96:97]
	v_mul_f64 v[92:93], v[92:93], v[110:111]
	v_fma_f64 v[176:177], v[94:95], v[108:109], v[92:93]
	v_mul_f64 v[92:93], v[90:91], v[106:107]
	s_delay_alu instid0(VALU_DEP_1) | instskip(SKIP_1) | instid1(VALU_DEP_1)
	v_fma_f64 v[164:165], v[88:89], v[104:105], -v[92:93]
	v_mul_f64 v[88:89], v[88:89], v[106:107]
	v_fma_f64 v[166:167], v[90:91], v[104:105], v[88:89]
	v_mul_f64 v[88:89], v[86:87], v[146:147]
	s_delay_alu instid0(VALU_DEP_1) | instskip(SKIP_1) | instid1(VALU_DEP_1)
	v_fma_f64 v[160:161], v[84:85], v[144:145], -v[88:89]
	v_mul_f64 v[84:85], v[84:85], v[146:147]
	v_fma_f64 v[162:163], v[86:87], v[144:145], v[84:85]
	v_mul_f64 v[84:85], v[82:83], v[126:127]
	s_delay_alu instid0(VALU_DEP_1) | instskip(SKIP_1) | instid1(VALU_DEP_1)
	v_fma_f64 v[152:153], v[80:81], v[124:125], -v[84:85]
	v_mul_f64 v[80:81], v[80:81], v[126:127]
	v_fma_f64 v[154:155], v[82:83], v[124:125], v[80:81]
	v_mul_f64 v[80:81], v[78:79], v[122:123]
	s_delay_alu instid0(VALU_DEP_1) | instskip(SKIP_1) | instid1(VALU_DEP_1)
	v_fma_f64 v[156:157], v[76:77], v[120:121], -v[80:81]
	v_mul_f64 v[76:77], v[76:77], v[122:123]
	v_fma_f64 v[158:159], v[78:79], v[120:121], v[76:77]
	v_mul_f64 v[76:77], v[74:75], v[118:119]
	s_delay_alu instid0(VALU_DEP_1) | instskip(SKIP_1) | instid1(VALU_DEP_1)
	v_fma_f64 v[168:169], v[72:73], v[116:117], -v[76:77]
	v_mul_f64 v[72:73], v[72:73], v[118:119]
	v_fma_f64 v[170:171], v[74:75], v[116:117], v[72:73]
	v_mul_f64 v[72:73], v[70:71], v[150:151]
	s_delay_alu instid0(VALU_DEP_1) | instskip(SKIP_1) | instid1(VALU_DEP_1)
	v_fma_f64 v[184:185], v[68:69], v[148:149], -v[72:73]
	v_mul_f64 v[68:69], v[68:69], v[150:151]
	v_fma_f64 v[186:187], v[70:71], v[148:149], v[68:69]
	v_mul_f64 v[68:69], v[66:67], v[142:143]
	s_delay_alu instid0(VALU_DEP_1) | instskip(SKIP_1) | instid1(VALU_DEP_1)
	v_fma_f64 v[188:189], v[64:65], v[140:141], -v[68:69]
	v_mul_f64 v[64:65], v[64:65], v[142:143]
	v_fma_f64 v[190:191], v[66:67], v[140:141], v[64:65]
	v_mul_f64 v[64:65], v[62:63], v[138:139]
	s_delay_alu instid0(VALU_DEP_1) | instskip(SKIP_1) | instid1(VALU_DEP_1)
	v_fma_f64 v[192:193], v[60:61], v[136:137], -v[64:65]
	v_mul_f64 v[60:61], v[60:61], v[138:139]
	v_fma_f64 v[194:195], v[62:63], v[136:137], v[60:61]
	v_mul_f64 v[60:61], v[54:55], v[130:131]
	s_delay_alu instid0(VALU_DEP_1) | instskip(SKIP_1) | instid1(VALU_DEP_1)
	v_fma_f64 v[205:206], v[52:53], v[128:129], -v[60:61]
	v_mul_f64 v[52:53], v[52:53], v[130:131]
	v_fma_f64 v[52:53], v[54:55], v[128:129], v[52:53]
	v_mul_f64 v[54:55], v[50:51], v[134:135]
	s_delay_alu instid0(VALU_DEP_1) | instskip(SKIP_1) | instid1(VALU_DEP_1)
	v_fma_f64 v[172:173], v[48:49], v[132:133], -v[54:55]
	v_mul_f64 v[48:49], v[48:49], v[134:135]
	v_fma_f64 v[100:101], v[50:51], v[132:133], v[48:49]
	v_mul_f64 v[48:49], v[46:47], v[114:115]
	s_delay_alu instid0(VALU_DEP_1) | instskip(SKIP_1) | instid1(VALU_DEP_1)
	v_fma_f64 v[96:97], v[44:45], v[112:113], -v[48:49]
	v_mul_f64 v[44:45], v[44:45], v[114:115]
	v_fma_f64 v[92:93], v[46:47], v[112:113], v[44:45]
	v_mul_f64 v[44:45], v[42:43], v[110:111]
	s_delay_alu instid0(VALU_DEP_1) | instskip(SKIP_1) | instid1(VALU_DEP_1)
	v_fma_f64 v[88:89], v[40:41], v[108:109], -v[44:45]
	v_mul_f64 v[40:41], v[40:41], v[110:111]
	v_fma_f64 v[84:85], v[42:43], v[108:109], v[40:41]
	v_mul_f64 v[40:41], v[38:39], v[106:107]
	s_delay_alu instid0(VALU_DEP_1) | instskip(SKIP_1) | instid1(VALU_DEP_1)
	v_fma_f64 v[80:81], v[36:37], v[104:105], -v[40:41]
	v_mul_f64 v[36:37], v[36:37], v[106:107]
	v_fma_f64 v[76:77], v[38:39], v[104:105], v[36:37]
	v_mul_f64 v[36:37], v[34:35], v[146:147]
	s_delay_alu instid0(VALU_DEP_1) | instskip(SKIP_1) | instid1(VALU_DEP_1)
	v_fma_f64 v[72:73], v[32:33], v[144:145], -v[36:37]
	v_mul_f64 v[32:33], v[32:33], v[146:147]
	v_fma_f64 v[68:69], v[34:35], v[144:145], v[32:33]
	v_mul_f64 v[32:33], v[30:31], v[126:127]
	s_delay_alu instid0(VALU_DEP_1) | instskip(SKIP_1) | instid1(VALU_DEP_1)
	v_fma_f64 v[64:65], v[28:29], v[124:125], -v[32:33]
	v_mul_f64 v[28:29], v[28:29], v[126:127]
	v_fma_f64 v[60:61], v[30:31], v[124:125], v[28:29]
	v_mul_f64 v[28:29], v[26:27], v[122:123]
	s_delay_alu instid0(VALU_DEP_1) | instskip(SKIP_1) | instid1(VALU_DEP_1)
	v_fma_f64 v[66:67], v[24:25], v[120:121], -v[28:29]
	v_mul_f64 v[24:25], v[24:25], v[122:123]
	v_fma_f64 v[62:63], v[26:27], v[120:121], v[24:25]
	v_mul_f64 v[24:25], v[22:23], v[118:119]
	s_delay_alu instid0(VALU_DEP_1) | instskip(SKIP_1) | instid1(VALU_DEP_1)
	v_fma_f64 v[74:75], v[20:21], v[116:117], -v[24:25]
	v_mul_f64 v[20:21], v[20:21], v[118:119]
	v_fma_f64 v[70:71], v[22:23], v[116:117], v[20:21]
	v_mul_f64 v[20:21], v[18:19], v[150:151]
	s_delay_alu instid0(VALU_DEP_1) | instskip(SKIP_1) | instid1(VALU_DEP_1)
	v_fma_f64 v[82:83], v[16:17], v[148:149], -v[20:21]
	v_mul_f64 v[16:17], v[16:17], v[150:151]
	v_fma_f64 v[78:79], v[18:19], v[148:149], v[16:17]
	v_mul_f64 v[16:17], v[14:15], v[142:143]
	s_delay_alu instid0(VALU_DEP_1) | instskip(SKIP_1) | instid1(VALU_DEP_1)
	v_fma_f64 v[90:91], v[12:13], v[140:141], -v[16:17]
	v_mul_f64 v[12:13], v[12:13], v[142:143]
	v_fma_f64 v[86:87], v[14:15], v[140:141], v[12:13]
	v_mul_f64 v[12:13], v[10:11], v[138:139]
	v_add_f64 v[14:15], v[203:204], -v[52:53]
	s_delay_alu instid0(VALU_DEP_2) | instskip(SKIP_2) | instid1(VALU_DEP_4)
	v_fma_f64 v[98:99], v[8:9], v[136:137], -v[12:13]
	v_mul_f64 v[8:9], v[8:9], v[138:139]
	v_add_f64 v[12:13], v[201:202], -v[205:206]
	v_mul_f64 v[16:17], v[14:15], s[48:49]
	v_mul_f64 v[24:25], v[14:15], s[34:35]
	;; [unrolled: 1-line block ×6, first 2 shown]
	v_fma_f64 v[94:95], v[10:11], v[136:137], v[8:9]
	v_mul_f64 v[8:9], v[2:3], v[130:131]
	v_add_f64 v[10:11], v[203:204], v[52:53]
	v_mul_f64 v[20:21], v[12:13], s[48:49]
	v_mul_f64 v[28:29], v[12:13], s[34:35]
	;; [unrolled: 1-line block ×4, first 2 shown]
	v_fma_f64 v[178:179], v[0:1], v[128:129], -v[8:9]
	v_mul_f64 v[0:1], v[0:1], v[130:131]
	v_add_f64 v[8:9], v[201:202], v[205:206]
	v_fma_f64 v[22:23], v[10:11], s[22:23], v[20:21]
	v_fma_f64 v[20:21], v[10:11], s[22:23], -v[20:21]
	v_fma_f64 v[30:31], v[10:11], s[16:17], v[28:29]
	v_fma_f64 v[28:29], v[10:11], s[16:17], -v[28:29]
	;; [unrolled: 2-line block ×4, first 2 shown]
	v_fma_f64 v[102:103], v[2:3], v[128:129], v[0:1]
	v_add_f64 v[2:3], v[6:7], v[203:204]
	v_add_f64 v[0:1], v[4:5], v[201:202]
	v_fma_f64 v[18:19], v[8:9], s[22:23], -v[16:17]
	v_fma_f64 v[16:17], v[8:9], s[22:23], v[16:17]
	v_fma_f64 v[26:27], v[8:9], s[16:17], -v[24:25]
	v_fma_f64 v[24:25], v[8:9], s[16:17], v[24:25]
	v_fma_f64 v[34:35], v[8:9], s[2:3], -v[32:33]
	v_fma_f64 v[32:33], v[8:9], s[2:3], v[32:33]
	v_fma_f64 v[42:43], v[8:9], s[14:15], -v[40:41]
	v_fma_f64 v[40:41], v[8:9], s[14:15], v[40:41]
	v_fma_f64 v[50:51], v[8:9], s[24:25], -v[48:49]
	v_fma_f64 v[48:49], v[8:9], s[24:25], v[48:49]
	v_fma_f64 v[201:202], v[8:9], s[28:29], -v[14:15]
	v_fma_f64 v[8:9], v[8:9], s[28:29], v[14:15]
	v_add_f64 v[14:15], v[182:183], -v[194:195]
	v_add_f64 v[22:23], v[6:7], v[22:23]
	v_add_f64 v[20:21], v[6:7], v[20:21]
	;; [unrolled: 1-line block ×24, first 2 shown]
	s_delay_alu instid0(VALU_DEP_2) | instskip(NEXT) | instid1(VALU_DEP_2)
	v_add_f64 v[2:3], v[2:3], v[166:167]
	v_add_f64 v[0:1], v[0:1], v[164:165]
	s_delay_alu instid0(VALU_DEP_2) | instskip(NEXT) | instid1(VALU_DEP_2)
	v_add_f64 v[2:3], v[2:3], v[162:163]
	v_add_f64 v[0:1], v[0:1], v[160:161]
	;; [unrolled: 3-line block ×8, first 2 shown]
	s_delay_alu instid0(VALU_DEP_2) | instskip(SKIP_2) | instid1(VALU_DEP_4)
	v_add_f64 v[2:3], v[2:3], v[52:53]
	v_mul_f64 v[52:53], v[12:13], s[26:27]
	v_mul_f64 v[12:13], v[12:13], s[30:31]
	v_add_f64 v[0:1], v[0:1], v[205:206]
	s_delay_alu instid0(VALU_DEP_3) | instskip(SKIP_1) | instid1(VALU_DEP_4)
	v_fma_f64 v[54:55], v[10:11], s[24:25], v[52:53]
	v_fma_f64 v[52:53], v[10:11], s[24:25], -v[52:53]
	v_fma_f64 v[203:204], v[10:11], s[28:29], v[12:13]
	v_fma_f64 v[8:9], v[10:11], s[28:29], -v[12:13]
	v_add_f64 v[12:13], v[180:181], -v[192:193]
	v_add_f64 v[10:11], v[182:183], v[194:195]
	v_add_f64 v[194:195], v[100:101], -v[102:103]
	v_add_f64 v[54:55], v[6:7], v[54:55]
	v_add_f64 v[52:53], v[6:7], v[52:53]
	;; [unrolled: 1-line block ×5, first 2 shown]
	v_mul_f64 v[180:181], v[14:15], s[34:35]
	s_delay_alu instid0(VALU_DEP_1) | instskip(SKIP_1) | instid1(VALU_DEP_2)
	v_fma_f64 v[182:183], v[8:9], s[16:17], -v[180:181]
	v_fma_f64 v[180:181], v[8:9], s[16:17], v[180:181]
	v_add_f64 v[18:19], v[182:183], v[18:19]
	v_mul_f64 v[182:183], v[12:13], s[34:35]
	s_delay_alu instid0(VALU_DEP_3) | instskip(NEXT) | instid1(VALU_DEP_2)
	v_add_f64 v[16:17], v[180:181], v[16:17]
	v_fma_f64 v[180:181], v[10:11], s[16:17], -v[182:183]
	v_fma_f64 v[192:193], v[10:11], s[16:17], v[182:183]
	s_delay_alu instid0(VALU_DEP_2) | instskip(SKIP_1) | instid1(VALU_DEP_3)
	v_add_f64 v[20:21], v[180:181], v[20:21]
	v_mul_f64 v[180:181], v[14:15], s[18:19]
	v_add_f64 v[22:23], v[192:193], v[22:23]
	s_delay_alu instid0(VALU_DEP_2) | instskip(SKIP_1) | instid1(VALU_DEP_2)
	v_fma_f64 v[182:183], v[8:9], s[14:15], -v[180:181]
	v_fma_f64 v[180:181], v[8:9], s[14:15], v[180:181]
	v_add_f64 v[26:27], v[182:183], v[26:27]
	v_mul_f64 v[182:183], v[12:13], s[18:19]
	s_delay_alu instid0(VALU_DEP_3) | instskip(NEXT) | instid1(VALU_DEP_2)
	v_add_f64 v[24:25], v[180:181], v[24:25]
	v_fma_f64 v[180:181], v[10:11], s[14:15], -v[182:183]
	v_fma_f64 v[192:193], v[10:11], s[14:15], v[182:183]
	s_delay_alu instid0(VALU_DEP_2) | instskip(SKIP_1) | instid1(VALU_DEP_3)
	v_add_f64 v[28:29], v[180:181], v[28:29]
	v_mul_f64 v[180:181], v[14:15], s[30:31]
	v_add_f64 v[30:31], v[192:193], v[30:31]
	s_delay_alu instid0(VALU_DEP_2) | instskip(SKIP_1) | instid1(VALU_DEP_2)
	;; [unrolled: 13-line block ×3, first 2 shown]
	v_fma_f64 v[182:183], v[8:9], s[24:25], -v[180:181]
	v_fma_f64 v[180:181], v[8:9], s[24:25], v[180:181]
	v_add_f64 v[42:43], v[182:183], v[42:43]
	v_mul_f64 v[182:183], v[12:13], s[44:45]
	s_delay_alu instid0(VALU_DEP_3) | instskip(NEXT) | instid1(VALU_DEP_2)
	v_add_f64 v[40:41], v[180:181], v[40:41]
	v_fma_f64 v[180:181], v[10:11], s[24:25], -v[182:183]
	v_fma_f64 v[192:193], v[10:11], s[24:25], v[182:183]
	s_delay_alu instid0(VALU_DEP_2) | instskip(SKIP_2) | instid1(VALU_DEP_4)
	v_add_f64 v[44:45], v[180:181], v[44:45]
	v_mul_f64 v[180:181], v[14:15], s[20:21]
	v_mul_f64 v[14:15], v[14:15], s[38:39]
	v_add_f64 v[46:47], v[192:193], v[46:47]
	s_delay_alu instid0(VALU_DEP_3) | instskip(SKIP_1) | instid1(VALU_DEP_2)
	v_fma_f64 v[182:183], v[8:9], s[2:3], -v[180:181]
	v_fma_f64 v[180:181], v[8:9], s[2:3], v[180:181]
	v_add_f64 v[50:51], v[182:183], v[50:51]
	v_mul_f64 v[182:183], v[12:13], s[20:21]
	s_delay_alu instid0(VALU_DEP_3) | instskip(SKIP_1) | instid1(VALU_DEP_3)
	v_add_f64 v[48:49], v[180:181], v[48:49]
	v_mul_f64 v[12:13], v[12:13], s[38:39]
	v_fma_f64 v[180:181], v[10:11], s[2:3], -v[182:183]
	v_fma_f64 v[192:193], v[10:11], s[2:3], v[182:183]
	s_delay_alu instid0(VALU_DEP_3) | instskip(NEXT) | instid1(VALU_DEP_3)
	v_fma_f64 v[182:183], v[10:11], s[22:23], v[12:13]
	v_add_f64 v[52:53], v[180:181], v[52:53]
	v_fma_f64 v[180:181], v[8:9], s[22:23], -v[14:15]
	v_fma_f64 v[8:9], v[8:9], s[22:23], v[14:15]
	v_add_f64 v[14:15], v[176:177], -v[190:191]
	v_add_f64 v[54:55], v[192:193], v[54:55]
	v_add_f64 v[182:183], v[182:183], v[203:204]
	;; [unrolled: 1-line block ×4, first 2 shown]
	v_fma_f64 v[8:9], v[10:11], s[22:23], -v[12:13]
	v_add_f64 v[12:13], v[174:175], -v[188:189]
	v_add_f64 v[10:11], v[176:177], v[190:191]
	v_mul_f64 v[190:191], v[194:195], s[26:27]
	v_mul_f64 v[201:202], v[194:195], s[30:31]
	v_add_f64 v[6:7], v[8:9], v[6:7]
	v_add_f64 v[8:9], v[174:175], v[188:189]
	v_mul_f64 v[174:175], v[14:15], s[40:41]
	s_delay_alu instid0(VALU_DEP_1) | instskip(SKIP_1) | instid1(VALU_DEP_2)
	v_fma_f64 v[176:177], v[8:9], s[2:3], -v[174:175]
	v_fma_f64 v[174:175], v[8:9], s[2:3], v[174:175]
	v_add_f64 v[18:19], v[176:177], v[18:19]
	v_mul_f64 v[176:177], v[12:13], s[40:41]
	s_delay_alu instid0(VALU_DEP_3) | instskip(NEXT) | instid1(VALU_DEP_2)
	v_add_f64 v[16:17], v[174:175], v[16:17]
	v_fma_f64 v[174:175], v[10:11], s[2:3], -v[176:177]
	v_fma_f64 v[188:189], v[10:11], s[2:3], v[176:177]
	s_delay_alu instid0(VALU_DEP_2) | instskip(SKIP_1) | instid1(VALU_DEP_3)
	v_add_f64 v[20:21], v[174:175], v[20:21]
	v_mul_f64 v[174:175], v[14:15], s[30:31]
	v_add_f64 v[22:23], v[188:189], v[22:23]
	s_delay_alu instid0(VALU_DEP_2) | instskip(SKIP_1) | instid1(VALU_DEP_2)
	v_fma_f64 v[176:177], v[8:9], s[28:29], -v[174:175]
	v_fma_f64 v[174:175], v[8:9], s[28:29], v[174:175]
	v_add_f64 v[26:27], v[176:177], v[26:27]
	v_mul_f64 v[176:177], v[12:13], s[30:31]
	s_delay_alu instid0(VALU_DEP_3) | instskip(NEXT) | instid1(VALU_DEP_2)
	v_add_f64 v[24:25], v[174:175], v[24:25]
	v_fma_f64 v[174:175], v[10:11], s[28:29], -v[176:177]
	v_fma_f64 v[188:189], v[10:11], s[28:29], v[176:177]
	s_delay_alu instid0(VALU_DEP_2) | instskip(SKIP_1) | instid1(VALU_DEP_3)
	v_add_f64 v[28:29], v[174:175], v[28:29]
	v_mul_f64 v[174:175], v[14:15], s[46:47]
	v_add_f64 v[30:31], v[188:189], v[30:31]
	s_delay_alu instid0(VALU_DEP_2) | instskip(SKIP_1) | instid1(VALU_DEP_2)
	;; [unrolled: 13-line block ×3, first 2 shown]
	v_fma_f64 v[176:177], v[8:9], s[22:23], -v[174:175]
	v_fma_f64 v[174:175], v[8:9], s[22:23], v[174:175]
	v_add_f64 v[42:43], v[176:177], v[42:43]
	v_mul_f64 v[176:177], v[12:13], s[38:39]
	s_delay_alu instid0(VALU_DEP_3) | instskip(NEXT) | instid1(VALU_DEP_2)
	v_add_f64 v[40:41], v[174:175], v[40:41]
	v_fma_f64 v[174:175], v[10:11], s[22:23], -v[176:177]
	v_fma_f64 v[188:189], v[10:11], s[22:23], v[176:177]
	s_delay_alu instid0(VALU_DEP_2) | instskip(SKIP_2) | instid1(VALU_DEP_4)
	v_add_f64 v[44:45], v[174:175], v[44:45]
	v_mul_f64 v[174:175], v[14:15], s[34:35]
	v_mul_f64 v[14:15], v[14:15], s[26:27]
	v_add_f64 v[46:47], v[188:189], v[46:47]
	s_delay_alu instid0(VALU_DEP_3) | instskip(SKIP_1) | instid1(VALU_DEP_2)
	v_fma_f64 v[176:177], v[8:9], s[16:17], -v[174:175]
	v_fma_f64 v[174:175], v[8:9], s[16:17], v[174:175]
	v_add_f64 v[50:51], v[176:177], v[50:51]
	v_mul_f64 v[176:177], v[12:13], s[34:35]
	s_delay_alu instid0(VALU_DEP_3) | instskip(SKIP_1) | instid1(VALU_DEP_3)
	v_add_f64 v[48:49], v[174:175], v[48:49]
	v_mul_f64 v[12:13], v[12:13], s[26:27]
	v_fma_f64 v[174:175], v[10:11], s[16:17], -v[176:177]
	v_fma_f64 v[188:189], v[10:11], s[16:17], v[176:177]
	s_delay_alu instid0(VALU_DEP_3) | instskip(NEXT) | instid1(VALU_DEP_3)
	v_fma_f64 v[176:177], v[10:11], s[24:25], v[12:13]
	v_add_f64 v[52:53], v[174:175], v[52:53]
	v_fma_f64 v[174:175], v[8:9], s[24:25], -v[14:15]
	v_fma_f64 v[8:9], v[8:9], s[24:25], v[14:15]
	v_add_f64 v[14:15], v[166:167], -v[186:187]
	v_add_f64 v[54:55], v[188:189], v[54:55]
	v_add_f64 v[176:177], v[176:177], v[182:183]
	v_mul_f64 v[182:183], v[194:195], s[18:19]
	v_add_f64 v[174:175], v[174:175], v[180:181]
	v_add_f64 v[4:5], v[8:9], v[4:5]
	v_fma_f64 v[8:9], v[10:11], s[24:25], -v[12:13]
	v_add_f64 v[12:13], v[164:165], -v[184:185]
	v_add_f64 v[10:11], v[166:167], v[186:187]
	s_delay_alu instid0(VALU_DEP_3) | instskip(SKIP_2) | instid1(VALU_DEP_1)
	v_add_f64 v[6:7], v[8:9], v[6:7]
	v_add_f64 v[8:9], v[164:165], v[184:185]
	v_mul_f64 v[164:165], v[14:15], s[18:19]
	v_fma_f64 v[166:167], v[8:9], s[14:15], -v[164:165]
	v_fma_f64 v[164:165], v[8:9], s[14:15], v[164:165]
	s_delay_alu instid0(VALU_DEP_2) | instskip(SKIP_1) | instid1(VALU_DEP_3)
	v_add_f64 v[18:19], v[166:167], v[18:19]
	v_mul_f64 v[166:167], v[12:13], s[18:19]
	v_add_f64 v[16:17], v[164:165], v[16:17]
	s_delay_alu instid0(VALU_DEP_2) | instskip(SKIP_1) | instid1(VALU_DEP_2)
	v_fma_f64 v[164:165], v[10:11], s[14:15], -v[166:167]
	v_fma_f64 v[180:181], v[10:11], s[14:15], v[166:167]
	v_add_f64 v[20:21], v[164:165], v[20:21]
	v_mul_f64 v[164:165], v[14:15], s[44:45]
	s_delay_alu instid0(VALU_DEP_3) | instskip(NEXT) | instid1(VALU_DEP_2)
	v_add_f64 v[22:23], v[180:181], v[22:23]
	v_fma_f64 v[166:167], v[8:9], s[24:25], -v[164:165]
	v_fma_f64 v[164:165], v[8:9], s[24:25], v[164:165]
	s_delay_alu instid0(VALU_DEP_2) | instskip(SKIP_1) | instid1(VALU_DEP_3)
	v_add_f64 v[26:27], v[166:167], v[26:27]
	v_mul_f64 v[166:167], v[12:13], s[44:45]
	v_add_f64 v[24:25], v[164:165], v[24:25]
	s_delay_alu instid0(VALU_DEP_2) | instskip(SKIP_1) | instid1(VALU_DEP_2)
	v_fma_f64 v[164:165], v[10:11], s[24:25], -v[166:167]
	v_fma_f64 v[180:181], v[10:11], s[24:25], v[166:167]
	v_add_f64 v[28:29], v[164:165], v[28:29]
	v_mul_f64 v[164:165], v[14:15], s[38:39]
	s_delay_alu instid0(VALU_DEP_3) | instskip(NEXT) | instid1(VALU_DEP_2)
	v_add_f64 v[30:31], v[180:181], v[30:31]
	;; [unrolled: 13-line block ×3, first 2 shown]
	v_fma_f64 v[166:167], v[8:9], s[2:3], -v[164:165]
	v_fma_f64 v[164:165], v[8:9], s[2:3], v[164:165]
	s_delay_alu instid0(VALU_DEP_2) | instskip(SKIP_1) | instid1(VALU_DEP_3)
	v_add_f64 v[42:43], v[166:167], v[42:43]
	v_mul_f64 v[166:167], v[12:13], s[40:41]
	v_add_f64 v[40:41], v[164:165], v[40:41]
	s_delay_alu instid0(VALU_DEP_2) | instskip(SKIP_1) | instid1(VALU_DEP_2)
	v_fma_f64 v[164:165], v[10:11], s[2:3], -v[166:167]
	v_fma_f64 v[180:181], v[10:11], s[2:3], v[166:167]
	v_add_f64 v[44:45], v[164:165], v[44:45]
	v_mul_f64 v[164:165], v[14:15], s[42:43]
	v_mul_f64 v[14:15], v[14:15], s[36:37]
	s_delay_alu instid0(VALU_DEP_4) | instskip(NEXT) | instid1(VALU_DEP_3)
	v_add_f64 v[46:47], v[180:181], v[46:47]
	v_fma_f64 v[166:167], v[8:9], s[28:29], -v[164:165]
	v_fma_f64 v[164:165], v[8:9], s[28:29], v[164:165]
	s_delay_alu instid0(VALU_DEP_2) | instskip(SKIP_1) | instid1(VALU_DEP_3)
	v_add_f64 v[50:51], v[166:167], v[50:51]
	v_mul_f64 v[166:167], v[12:13], s[42:43]
	v_add_f64 v[48:49], v[164:165], v[48:49]
	v_mul_f64 v[12:13], v[12:13], s[36:37]
	s_delay_alu instid0(VALU_DEP_3) | instskip(SKIP_1) | instid1(VALU_DEP_3)
	v_fma_f64 v[164:165], v[10:11], s[28:29], -v[166:167]
	v_fma_f64 v[180:181], v[10:11], s[28:29], v[166:167]
	v_fma_f64 v[166:167], v[10:11], s[16:17], v[12:13]
	s_delay_alu instid0(VALU_DEP_3)
	v_add_f64 v[52:53], v[164:165], v[52:53]
	v_fma_f64 v[164:165], v[8:9], s[16:17], -v[14:15]
	v_fma_f64 v[8:9], v[8:9], s[16:17], v[14:15]
	v_add_f64 v[14:15], v[162:163], -v[170:171]
	v_add_f64 v[54:55], v[180:181], v[54:55]
	v_add_f64 v[166:167], v[166:167], v[176:177]
	;; [unrolled: 1-line block ×3, first 2 shown]
	v_add_f64 v[154:155], v[154:155], -v[158:159]
	v_add_f64 v[164:165], v[164:165], v[174:175]
	v_add_f64 v[4:5], v[8:9], v[4:5]
	v_fma_f64 v[8:9], v[10:11], s[16:17], -v[12:13]
	v_add_f64 v[12:13], v[160:161], -v[168:169]
	v_add_f64 v[10:11], v[162:163], v[170:171]
	v_add_f64 v[174:175], v[152:153], v[156:157]
	v_add_f64 v[152:153], v[152:153], -v[156:157]
	v_add_f64 v[6:7], v[8:9], v[6:7]
	v_add_f64 v[8:9], v[160:161], v[168:169]
	v_mul_f64 v[160:161], v[14:15], s[26:27]
	s_delay_alu instid0(VALU_DEP_1) | instskip(SKIP_1) | instid1(VALU_DEP_2)
	v_fma_f64 v[162:163], v[8:9], s[24:25], -v[160:161]
	v_fma_f64 v[160:161], v[8:9], s[24:25], v[160:161]
	v_add_f64 v[18:19], v[162:163], v[18:19]
	v_mul_f64 v[162:163], v[12:13], s[26:27]
	s_delay_alu instid0(VALU_DEP_3) | instskip(NEXT) | instid1(VALU_DEP_2)
	v_add_f64 v[16:17], v[160:161], v[16:17]
	v_fma_f64 v[160:161], v[10:11], s[24:25], -v[162:163]
	v_fma_f64 v[168:169], v[10:11], s[24:25], v[162:163]
	s_delay_alu instid0(VALU_DEP_2) | instskip(SKIP_1) | instid1(VALU_DEP_3)
	v_add_f64 v[20:21], v[160:161], v[20:21]
	v_mul_f64 v[160:161], v[14:15], s[20:21]
	v_add_f64 v[22:23], v[168:169], v[22:23]
	s_delay_alu instid0(VALU_DEP_2) | instskip(NEXT) | instid1(VALU_DEP_1)
	v_fma_f64 v[162:163], v[8:9], s[2:3], -v[160:161]
	v_add_f64 v[26:27], v[162:163], v[26:27]
	v_mul_f64 v[162:163], v[12:13], s[20:21]
	s_delay_alu instid0(VALU_DEP_1) | instskip(NEXT) | instid1(VALU_DEP_1)
	v_fma_f64 v[168:169], v[10:11], s[2:3], v[162:163]
	v_add_f64 v[168:169], v[168:169], v[30:31]
	v_fma_f64 v[30:31], v[8:9], s[2:3], v[160:161]
	s_delay_alu instid0(VALU_DEP_1) | instskip(SKIP_1) | instid1(VALU_DEP_1)
	v_add_f64 v[24:25], v[30:31], v[24:25]
	v_fma_f64 v[30:31], v[10:11], s[2:3], -v[162:163]
	v_add_f64 v[160:161], v[30:31], v[28:29]
	v_mul_f64 v[28:29], v[14:15], s[34:35]
	s_delay_alu instid0(VALU_DEP_1) | instskip(SKIP_1) | instid1(VALU_DEP_2)
	v_fma_f64 v[30:31], v[8:9], s[16:17], -v[28:29]
	v_fma_f64 v[28:29], v[8:9], s[16:17], v[28:29]
	v_add_f64 v[34:35], v[30:31], v[34:35]
	v_mul_f64 v[30:31], v[12:13], s[34:35]
	s_delay_alu instid0(VALU_DEP_3) | instskip(NEXT) | instid1(VALU_DEP_2)
	v_add_f64 v[32:33], v[28:29], v[32:33]
	v_fma_f64 v[28:29], v[10:11], s[16:17], -v[30:31]
	v_fma_f64 v[162:163], v[10:11], s[16:17], v[30:31]
	s_delay_alu instid0(VALU_DEP_2) | instskip(SKIP_1) | instid1(VALU_DEP_3)
	v_add_f64 v[36:37], v[28:29], v[36:37]
	v_mul_f64 v[28:29], v[14:15], s[42:43]
	v_add_f64 v[38:39], v[162:163], v[38:39]
	s_delay_alu instid0(VALU_DEP_2) | instskip(SKIP_1) | instid1(VALU_DEP_2)
	v_fma_f64 v[30:31], v[8:9], s[28:29], -v[28:29]
	v_fma_f64 v[28:29], v[8:9], s[28:29], v[28:29]
	v_add_f64 v[42:43], v[30:31], v[42:43]
	v_mul_f64 v[30:31], v[12:13], s[42:43]
	s_delay_alu instid0(VALU_DEP_3) | instskip(NEXT) | instid1(VALU_DEP_2)
	v_add_f64 v[40:41], v[28:29], v[40:41]
	v_fma_f64 v[28:29], v[10:11], s[28:29], -v[30:31]
	v_fma_f64 v[162:163], v[10:11], s[28:29], v[30:31]
	s_delay_alu instid0(VALU_DEP_2) | instskip(SKIP_2) | instid1(VALU_DEP_4)
	v_add_f64 v[44:45], v[28:29], v[44:45]
	v_mul_f64 v[28:29], v[14:15], s[38:39]
	v_mul_f64 v[14:15], v[14:15], s[18:19]
	v_add_f64 v[46:47], v[162:163], v[46:47]
	s_delay_alu instid0(VALU_DEP_3) | instskip(SKIP_1) | instid1(VALU_DEP_2)
	v_fma_f64 v[30:31], v[8:9], s[22:23], -v[28:29]
	v_fma_f64 v[28:29], v[8:9], s[22:23], v[28:29]
	v_add_f64 v[50:51], v[30:31], v[50:51]
	v_mul_f64 v[30:31], v[12:13], s[38:39]
	s_delay_alu instid0(VALU_DEP_3) | instskip(SKIP_1) | instid1(VALU_DEP_3)
	v_add_f64 v[48:49], v[28:29], v[48:49]
	v_mul_f64 v[12:13], v[12:13], s[18:19]
	v_fma_f64 v[28:29], v[10:11], s[22:23], -v[30:31]
	v_fma_f64 v[162:163], v[10:11], s[22:23], v[30:31]
	s_delay_alu instid0(VALU_DEP_2) | instskip(SKIP_1) | instid1(VALU_DEP_3)
	v_add_f64 v[52:53], v[28:29], v[52:53]
	v_fma_f64 v[28:29], v[8:9], s[14:15], -v[14:15]
	v_add_f64 v[54:55], v[162:163], v[54:55]
	v_fma_f64 v[8:9], v[8:9], s[14:15], v[14:15]
	s_delay_alu instid0(VALU_DEP_3) | instskip(SKIP_1) | instid1(VALU_DEP_1)
	v_add_f64 v[162:163], v[28:29], v[164:165]
	v_fma_f64 v[28:29], v[10:11], s[14:15], v[12:13]
	v_add_f64 v[164:165], v[28:29], v[166:167]
	s_delay_alu instid0(VALU_DEP_4) | instskip(SKIP_1) | instid1(VALU_DEP_1)
	v_add_f64 v[166:167], v[8:9], v[4:5]
	v_fma_f64 v[4:5], v[10:11], s[14:15], -v[12:13]
	v_add_f64 v[170:171], v[4:5], v[6:7]
	v_mul_f64 v[4:5], v[154:155], s[30:31]
	s_delay_alu instid0(VALU_DEP_1) | instskip(SKIP_1) | instid1(VALU_DEP_2)
	v_fma_f64 v[6:7], v[174:175], s[28:29], -v[4:5]
	v_fma_f64 v[4:5], v[174:175], s[28:29], v[4:5]
	v_add_f64 v[28:29], v[6:7], v[18:19]
	v_mul_f64 v[6:7], v[152:153], s[30:31]
	s_delay_alu instid0(VALU_DEP_3) | instskip(NEXT) | instid1(VALU_DEP_2)
	v_add_f64 v[4:5], v[4:5], v[16:17]
	v_fma_f64 v[8:9], v[176:177], s[28:29], v[6:7]
	v_fma_f64 v[6:7], v[176:177], s[28:29], -v[6:7]
	s_delay_alu instid0(VALU_DEP_2) | instskip(SKIP_1) | instid1(VALU_DEP_3)
	v_add_f64 v[30:31], v[8:9], v[22:23]
	v_mul_f64 v[8:9], v[154:155], s[38:39]
	v_add_f64 v[6:7], v[6:7], v[20:21]
	s_delay_alu instid0(VALU_DEP_2) | instskip(SKIP_1) | instid1(VALU_DEP_2)
	v_fma_f64 v[10:11], v[174:175], s[22:23], -v[8:9]
	v_fma_f64 v[8:9], v[174:175], s[22:23], v[8:9]
	v_add_f64 v[16:17], v[10:11], v[26:27]
	v_mul_f64 v[10:11], v[152:153], s[38:39]
	s_delay_alu instid0(VALU_DEP_3) | instskip(NEXT) | instid1(VALU_DEP_2)
	v_add_f64 v[8:9], v[8:9], v[24:25]
	v_fma_f64 v[12:13], v[176:177], s[22:23], v[10:11]
	v_fma_f64 v[10:11], v[176:177], s[22:23], -v[10:11]
	s_delay_alu instid0(VALU_DEP_2) | instskip(SKIP_1) | instid1(VALU_DEP_3)
	v_add_f64 v[18:19], v[12:13], v[168:169]
	v_mul_f64 v[12:13], v[154:155], s[26:27]
	v_add_f64 v[10:11], v[10:11], v[160:161]
	v_add_f64 v[160:161], v[172:173], -v[178:179]
	s_delay_alu instid0(VALU_DEP_3) | instskip(SKIP_1) | instid1(VALU_DEP_3)
	v_fma_f64 v[14:15], v[174:175], s[24:25], -v[12:13]
	v_fma_f64 v[12:13], v[174:175], s[24:25], v[12:13]
	v_mul_f64 v[156:157], v[160:161], s[48:49]
	v_mul_f64 v[168:169], v[160:161], s[34:35]
	;; [unrolled: 1-line block ×5, first 2 shown]
	v_add_f64 v[24:25], v[14:15], v[34:35]
	v_mul_f64 v[14:15], v[152:153], s[26:27]
	v_add_f64 v[12:13], v[12:13], v[32:33]
	s_delay_alu instid0(VALU_DEP_2) | instskip(SKIP_1) | instid1(VALU_DEP_2)
	v_fma_f64 v[20:21], v[176:177], s[24:25], v[14:15]
	v_fma_f64 v[14:15], v[176:177], s[24:25], -v[14:15]
	v_add_f64 v[26:27], v[20:21], v[38:39]
	s_delay_alu instid0(VALU_DEP_2) | instskip(SKIP_2) | instid1(VALU_DEP_2)
	v_add_f64 v[14:15], v[14:15], v[36:37]
	v_mul_f64 v[20:21], v[154:155], s[36:37]
	v_mul_f64 v[36:37], v[154:155], s[18:19]
	v_fma_f64 v[22:23], v[174:175], s[16:17], -v[20:21]
	v_fma_f64 v[20:21], v[174:175], s[16:17], v[20:21]
	s_delay_alu instid0(VALU_DEP_3) | instskip(SKIP_1) | instid1(VALU_DEP_4)
	v_fma_f64 v[38:39], v[174:175], s[14:15], -v[36:37]
	v_fma_f64 v[36:37], v[174:175], s[14:15], v[36:37]
	v_add_f64 v[32:33], v[22:23], v[42:43]
	s_delay_alu instid0(VALU_DEP_4) | instskip(NEXT) | instid1(VALU_DEP_4)
	v_add_f64 v[20:21], v[20:21], v[40:41]
	v_add_f64 v[40:41], v[38:39], v[50:51]
	v_mul_f64 v[38:39], v[152:153], s[18:19]
	v_mul_f64 v[22:23], v[152:153], s[36:37]
	v_add_f64 v[36:37], v[36:37], v[48:49]
	v_mul_f64 v[48:49], v[154:155], s[20:21]
	v_mul_f64 v[50:51], v[152:153], s[20:21]
	v_add_f64 v[154:155], v[172:173], v[178:179]
	v_add_f64 v[152:153], v[100:101], v[102:103]
	v_fma_f64 v[42:43], v[176:177], s[14:15], v[38:39]
	v_fma_f64 v[38:39], v[176:177], s[14:15], -v[38:39]
	v_fma_f64 v[34:35], v[176:177], s[16:17], v[22:23]
	v_fma_f64 v[22:23], v[176:177], s[16:17], -v[22:23]
	v_fma_f64 v[186:187], v[154:155], s[24:25], -v[190:191]
	v_fma_f64 v[180:181], v[152:153], s[14:15], v[184:185]
	v_fma_f64 v[184:185], v[152:153], s[14:15], -v[184:185]
	v_fma_f64 v[188:189], v[152:153], s[24:25], v[192:193]
	;; [unrolled: 2-line block ×3, first 2 shown]
	v_add_f64 v[42:43], v[42:43], v[54:55]
	v_add_f64 v[54:55], v[58:59], v[100:101]
	;; [unrolled: 1-line block ×6, first 2 shown]
	v_fma_f64 v[44:45], v[174:175], s[2:3], -v[48:49]
	v_fma_f64 v[46:47], v[176:177], s[2:3], v[50:51]
	v_fma_f64 v[48:49], v[174:175], s[2:3], v[48:49]
	v_fma_f64 v[50:51], v[176:177], s[2:3], -v[50:51]
	v_mul_f64 v[176:177], v[160:161], s[40:41]
	v_mul_f64 v[174:175], v[194:195], s[40:41]
	v_fma_f64 v[160:161], v[152:153], s[28:29], v[203:204]
	v_add_f64 v[180:181], v[58:59], v[180:181]
	v_add_f64 v[184:185], v[58:59], v[184:185]
	;; [unrolled: 1-line block ×11, first 2 shown]
	v_mul_f64 v[166:167], v[194:195], s[34:35]
	v_fma_f64 v[164:165], v[152:153], s[16:17], v[168:169]
	v_fma_f64 v[168:169], v[152:153], s[16:17], -v[168:169]
	v_fma_f64 v[172:173], v[152:153], s[2:3], v[176:177]
	v_fma_f64 v[176:177], v[152:153], s[2:3], -v[176:177]
	v_add_f64 v[50:51], v[50:51], v[170:171]
	v_fma_f64 v[170:171], v[154:155], s[2:3], -v[174:175]
	v_fma_f64 v[174:175], v[154:155], s[2:3], v[174:175]
	v_add_f64 v[160:161], v[58:59], v[160:161]
	v_add_f64 v[54:55], v[54:55], v[84:85]
	;; [unrolled: 1-line block ×3, first 2 shown]
	v_fma_f64 v[162:163], v[154:155], s[16:17], -v[166:167]
	v_add_f64 v[164:165], v[58:59], v[164:165]
	v_fma_f64 v[166:167], v[154:155], s[16:17], v[166:167]
	v_add_f64 v[168:169], v[58:59], v[168:169]
	v_add_f64 v[172:173], v[58:59], v[172:173]
	;; [unrolled: 1-line block ×9, first 2 shown]
	s_delay_alu instid0(VALU_DEP_4) | instskip(NEXT) | instid1(VALU_DEP_4)
	v_add_f64 v[54:55], v[54:55], v[68:69]
	v_add_f64 v[52:53], v[52:53], v[72:73]
	s_delay_alu instid0(VALU_DEP_2) | instskip(NEXT) | instid1(VALU_DEP_2)
	v_add_f64 v[54:55], v[54:55], v[60:61]
	v_add_f64 v[52:53], v[52:53], v[64:65]
	s_delay_alu instid0(VALU_DEP_2) | instskip(NEXT) | instid1(VALU_DEP_2)
	;; [unrolled: 3-line block ×6, first 2 shown]
	v_add_f64 v[54:55], v[54:55], v[94:95]
	v_add_f64 v[52:53], v[52:53], v[98:99]
	s_delay_alu instid0(VALU_DEP_2) | instskip(SKIP_1) | instid1(VALU_DEP_3)
	v_add_f64 v[54:55], v[54:55], v[102:103]
	v_mul_f64 v[102:103], v[194:195], s[48:49]
	v_add_f64 v[52:53], v[52:53], v[178:179]
	v_fma_f64 v[178:179], v[154:155], s[14:15], -v[182:183]
	v_fma_f64 v[182:183], v[154:155], s[14:15], v[182:183]
	v_fma_f64 v[194:195], v[154:155], s[28:29], -v[201:202]
	v_fma_f64 v[100:101], v[154:155], s[22:23], -v[102:103]
	v_fma_f64 v[102:103], v[154:155], s[22:23], v[102:103]
	v_fma_f64 v[154:155], v[154:155], s[28:29], v[201:202]
	v_add_f64 v[178:179], v[56:57], v[178:179]
	v_add_f64 v[182:183], v[56:57], v[182:183]
	;; [unrolled: 1-line block ×4, first 2 shown]
	v_fma_f64 v[100:101], v[152:153], s[22:23], v[156:157]
	v_fma_f64 v[156:157], v[152:153], s[22:23], -v[156:157]
	v_fma_f64 v[152:153], v[152:153], s[28:29], -v[203:204]
	v_add_f64 v[102:103], v[56:57], v[102:103]
	v_add_f64 v[56:57], v[56:57], v[154:155]
	;; [unrolled: 1-line block ×3, first 2 shown]
	v_add_f64 v[96:97], v[96:97], -v[98:99]
	v_add_f64 v[100:101], v[58:59], v[100:101]
	v_add_f64 v[156:157], v[58:59], v[156:157]
	;; [unrolled: 1-line block ×4, first 2 shown]
	v_add_f64 v[92:93], v[92:93], -v[94:95]
	s_delay_alu instid0(VALU_DEP_1) | instskip(NEXT) | instid1(VALU_DEP_1)
	v_mul_f64 v[94:95], v[92:93], s[34:35]
	v_fma_f64 v[98:99], v[154:155], s[16:17], -v[94:95]
	v_fma_f64 v[94:95], v[154:155], s[16:17], v[94:95]
	s_delay_alu instid0(VALU_DEP_2) | instskip(SKIP_1) | instid1(VALU_DEP_3)
	v_add_f64 v[98:99], v[98:99], v[158:159]
	v_mul_f64 v[158:159], v[96:97], s[34:35]
	v_add_f64 v[94:95], v[94:95], v[102:103]
	s_delay_alu instid0(VALU_DEP_2) | instskip(SKIP_1) | instid1(VALU_DEP_2)
	v_fma_f64 v[102:103], v[152:153], s[16:17], -v[158:159]
	v_fma_f64 v[201:202], v[152:153], s[16:17], v[158:159]
	v_add_f64 v[102:103], v[102:103], v[156:157]
	v_mul_f64 v[156:157], v[92:93], s[18:19]
	s_delay_alu instid0(VALU_DEP_3) | instskip(NEXT) | instid1(VALU_DEP_2)
	v_add_f64 v[100:101], v[201:202], v[100:101]
	v_fma_f64 v[158:159], v[154:155], s[14:15], -v[156:157]
	v_fma_f64 v[156:157], v[154:155], s[14:15], v[156:157]
	s_delay_alu instid0(VALU_DEP_2) | instskip(SKIP_1) | instid1(VALU_DEP_3)
	v_add_f64 v[158:159], v[158:159], v[162:163]
	v_mul_f64 v[162:163], v[96:97], s[18:19]
	v_add_f64 v[156:157], v[156:157], v[166:167]
	v_mul_f64 v[166:167], v[92:93], s[30:31]
	s_delay_alu instid0(VALU_DEP_3) | instskip(SKIP_1) | instid1(VALU_DEP_2)
	v_fma_f64 v[201:202], v[152:153], s[14:15], v[162:163]
	v_fma_f64 v[162:163], v[152:153], s[14:15], -v[162:163]
	v_add_f64 v[164:165], v[201:202], v[164:165]
	s_delay_alu instid0(VALU_DEP_2) | instskip(SKIP_2) | instid1(VALU_DEP_2)
	v_add_f64 v[162:163], v[162:163], v[168:169]
	v_fma_f64 v[168:169], v[154:155], s[28:29], -v[166:167]
	v_fma_f64 v[166:167], v[154:155], s[28:29], v[166:167]
	v_add_f64 v[168:169], v[168:169], v[170:171]
	v_mul_f64 v[170:171], v[96:97], s[30:31]
	s_delay_alu instid0(VALU_DEP_3) | instskip(SKIP_1) | instid1(VALU_DEP_3)
	v_add_f64 v[166:167], v[166:167], v[174:175]
	v_mul_f64 v[174:175], v[92:93], s[44:45]
	v_fma_f64 v[201:202], v[152:153], s[28:29], v[170:171]
	v_fma_f64 v[170:171], v[152:153], s[28:29], -v[170:171]
	s_delay_alu instid0(VALU_DEP_2) | instskip(NEXT) | instid1(VALU_DEP_2)
	v_add_f64 v[172:173], v[201:202], v[172:173]
	v_add_f64 v[170:171], v[170:171], v[176:177]
	v_fma_f64 v[176:177], v[154:155], s[24:25], -v[174:175]
	v_fma_f64 v[174:175], v[154:155], s[24:25], v[174:175]
	s_delay_alu instid0(VALU_DEP_2) | instskip(SKIP_1) | instid1(VALU_DEP_3)
	v_add_f64 v[176:177], v[176:177], v[178:179]
	v_mul_f64 v[178:179], v[96:97], s[44:45]
	v_add_f64 v[174:175], v[174:175], v[182:183]
	v_mul_f64 v[182:183], v[92:93], s[20:21]
	v_mul_f64 v[92:93], v[92:93], s[38:39]
	s_delay_alu instid0(VALU_DEP_4) | instskip(SKIP_1) | instid1(VALU_DEP_2)
	v_fma_f64 v[201:202], v[152:153], s[24:25], v[178:179]
	v_fma_f64 v[178:179], v[152:153], s[24:25], -v[178:179]
	v_add_f64 v[180:181], v[201:202], v[180:181]
	s_delay_alu instid0(VALU_DEP_2) | instskip(SKIP_2) | instid1(VALU_DEP_2)
	v_add_f64 v[178:179], v[178:179], v[184:185]
	v_fma_f64 v[184:185], v[154:155], s[2:3], -v[182:183]
	v_fma_f64 v[182:183], v[154:155], s[2:3], v[182:183]
	v_add_f64 v[184:185], v[184:185], v[186:187]
	v_mul_f64 v[186:187], v[96:97], s[20:21]
	s_delay_alu instid0(VALU_DEP_3)
	v_add_f64 v[182:183], v[182:183], v[190:191]
	v_fma_f64 v[190:191], v[154:155], s[22:23], -v[92:93]
	v_mul_f64 v[96:97], v[96:97], s[38:39]
	v_fma_f64 v[92:93], v[154:155], s[22:23], v[92:93]
	v_fma_f64 v[201:202], v[152:153], s[2:3], v[186:187]
	v_fma_f64 v[186:187], v[152:153], s[2:3], -v[186:187]
	v_add_f64 v[190:191], v[190:191], v[194:195]
	s_delay_alu instid0(VALU_DEP_4)
	v_add_f64 v[56:57], v[92:93], v[56:57]
	v_fma_f64 v[92:93], v[152:153], s[22:23], -v[96:97]
	v_add_f64 v[188:189], v[201:202], v[188:189]
	v_add_f64 v[186:187], v[186:187], v[192:193]
	v_fma_f64 v[192:193], v[152:153], s[22:23], v[96:97]
	v_add_f64 v[96:97], v[84:85], v[86:87]
	v_add_f64 v[84:85], v[84:85], -v[86:87]
	v_add_f64 v[58:59], v[92:93], v[58:59]
	v_add_f64 v[92:93], v[88:89], v[90:91]
	v_add_f64 v[88:89], v[88:89], -v[90:91]
	v_cndmask_b32_e32 v201, v218, v240, vcc_lo
	v_add_f64 v[160:161], v[192:193], v[160:161]
	v_mul_f64 v[86:87], v[84:85], s[40:41]
	s_delay_alu instid0(VALU_DEP_1) | instskip(SKIP_1) | instid1(VALU_DEP_2)
	v_fma_f64 v[90:91], v[92:93], s[2:3], -v[86:87]
	v_fma_f64 v[86:87], v[92:93], s[2:3], v[86:87]
	v_add_f64 v[90:91], v[90:91], v[98:99]
	v_mul_f64 v[98:99], v[88:89], s[40:41]
	s_delay_alu instid0(VALU_DEP_3) | instskip(NEXT) | instid1(VALU_DEP_2)
	v_add_f64 v[86:87], v[86:87], v[94:95]
	v_fma_f64 v[152:153], v[96:97], s[2:3], v[98:99]
	v_fma_f64 v[94:95], v[96:97], s[2:3], -v[98:99]
	v_mul_f64 v[98:99], v[84:85], s[30:31]
	s_delay_alu instid0(VALU_DEP_3) | instskip(NEXT) | instid1(VALU_DEP_3)
	v_add_f64 v[100:101], v[152:153], v[100:101]
	v_add_f64 v[94:95], v[94:95], v[102:103]
	s_delay_alu instid0(VALU_DEP_3) | instskip(SKIP_2) | instid1(VALU_DEP_3)
	v_fma_f64 v[102:103], v[92:93], s[28:29], -v[98:99]
	v_fma_f64 v[98:99], v[92:93], s[28:29], v[98:99]
	v_mul_f64 v[152:153], v[88:89], s[30:31]
	v_add_f64 v[102:103], v[102:103], v[158:159]
	s_delay_alu instid0(VALU_DEP_3) | instskip(SKIP_1) | instid1(VALU_DEP_4)
	v_add_f64 v[98:99], v[98:99], v[156:157]
	v_mul_f64 v[156:157], v[84:85], s[46:47]
	v_fma_f64 v[154:155], v[96:97], s[28:29], v[152:153]
	v_fma_f64 v[152:153], v[96:97], s[28:29], -v[152:153]
	s_delay_alu instid0(VALU_DEP_3) | instskip(SKIP_1) | instid1(VALU_DEP_3)
	v_fma_f64 v[158:159], v[92:93], s[14:15], -v[156:157]
	v_fma_f64 v[156:157], v[92:93], s[14:15], v[156:157]
	v_add_f64 v[152:153], v[152:153], v[162:163]
	v_mul_f64 v[162:163], v[88:89], s[46:47]
	v_add_f64 v[154:155], v[154:155], v[164:165]
	v_add_f64 v[158:159], v[158:159], v[168:169]
	;; [unrolled: 1-line block ×3, first 2 shown]
	v_mul_f64 v[166:167], v[84:85], s[38:39]
	v_fma_f64 v[164:165], v[96:97], s[14:15], v[162:163]
	v_fma_f64 v[162:163], v[96:97], s[14:15], -v[162:163]
	s_delay_alu instid0(VALU_DEP_3) | instskip(SKIP_1) | instid1(VALU_DEP_3)
	v_fma_f64 v[168:169], v[92:93], s[22:23], -v[166:167]
	v_fma_f64 v[166:167], v[92:93], s[22:23], v[166:167]
	v_add_f64 v[162:163], v[162:163], v[170:171]
	v_mul_f64 v[170:171], v[88:89], s[38:39]
	v_add_f64 v[164:165], v[164:165], v[172:173]
	v_add_f64 v[168:169], v[168:169], v[176:177]
	;; [unrolled: 1-line block ×3, first 2 shown]
	v_mul_f64 v[174:175], v[84:85], s[34:35]
	v_fma_f64 v[172:173], v[96:97], s[22:23], v[170:171]
	v_fma_f64 v[170:171], v[96:97], s[22:23], -v[170:171]
	v_mul_f64 v[84:85], v[84:85], s[26:27]
	s_delay_alu instid0(VALU_DEP_4) | instskip(SKIP_1) | instid1(VALU_DEP_4)
	v_fma_f64 v[176:177], v[92:93], s[16:17], -v[174:175]
	v_fma_f64 v[174:175], v[92:93], s[16:17], v[174:175]
	v_add_f64 v[170:171], v[170:171], v[178:179]
	v_mul_f64 v[178:179], v[88:89], s[34:35]
	v_mul_f64 v[88:89], v[88:89], s[26:27]
	v_add_f64 v[172:173], v[172:173], v[180:181]
	v_add_f64 v[176:177], v[176:177], v[184:185]
	;; [unrolled: 1-line block ×3, first 2 shown]
	v_fma_f64 v[182:183], v[92:93], s[24:25], -v[84:85]
	v_fma_f64 v[84:85], v[92:93], s[24:25], v[84:85]
	v_fma_f64 v[184:185], v[96:97], s[24:25], v[88:89]
	;; [unrolled: 1-line block ×3, first 2 shown]
	v_fma_f64 v[178:179], v[96:97], s[16:17], -v[178:179]
	v_add_f64 v[182:183], v[182:183], v[190:191]
	v_add_f64 v[56:57], v[84:85], v[56:57]
	v_fma_f64 v[84:85], v[96:97], s[24:25], -v[88:89]
	v_add_f64 v[88:89], v[76:77], v[78:79]
	v_add_f64 v[76:77], v[76:77], -v[78:79]
	v_add_f64 v[178:179], v[178:179], v[186:187]
	v_add_f64 v[180:181], v[180:181], v[188:189]
	;; [unrolled: 1-line block ×5, first 2 shown]
	v_mul_f64 v[78:79], v[76:77], s[18:19]
	v_add_f64 v[80:81], v[80:81], -v[82:83]
	s_delay_alu instid0(VALU_DEP_2) | instskip(SKIP_1) | instid1(VALU_DEP_3)
	v_fma_f64 v[82:83], v[84:85], s[14:15], -v[78:79]
	v_fma_f64 v[78:79], v[84:85], s[14:15], v[78:79]
	v_mul_f64 v[96:97], v[80:81], s[44:45]
	s_delay_alu instid0(VALU_DEP_3) | instskip(SKIP_1) | instid1(VALU_DEP_4)
	v_add_f64 v[82:83], v[82:83], v[90:91]
	v_mul_f64 v[90:91], v[80:81], s[18:19]
	v_add_f64 v[78:79], v[78:79], v[86:87]
	s_delay_alu instid0(VALU_DEP_2) | instskip(SKIP_2) | instid1(VALU_DEP_3)
	v_fma_f64 v[92:93], v[88:89], s[14:15], v[90:91]
	v_fma_f64 v[86:87], v[88:89], s[14:15], -v[90:91]
	v_mul_f64 v[90:91], v[76:77], s[44:45]
	v_add_f64 v[92:93], v[92:93], v[100:101]
	s_delay_alu instid0(VALU_DEP_3) | instskip(NEXT) | instid1(VALU_DEP_3)
	v_add_f64 v[86:87], v[86:87], v[94:95]
	v_fma_f64 v[94:95], v[84:85], s[24:25], -v[90:91]
	v_fma_f64 v[90:91], v[84:85], s[24:25], v[90:91]
	v_fma_f64 v[100:101], v[88:89], s[24:25], v[96:97]
	v_fma_f64 v[96:97], v[88:89], s[24:25], -v[96:97]
	s_delay_alu instid0(VALU_DEP_4) | instskip(NEXT) | instid1(VALU_DEP_4)
	v_add_f64 v[94:95], v[94:95], v[102:103]
	v_add_f64 v[90:91], v[90:91], v[98:99]
	v_mul_f64 v[98:99], v[76:77], s[38:39]
	s_delay_alu instid0(VALU_DEP_4) | instskip(SKIP_2) | instid1(VALU_DEP_4)
	v_add_f64 v[96:97], v[96:97], v[152:153]
	v_mul_f64 v[152:153], v[80:81], s[38:39]
	v_add_f64 v[100:101], v[100:101], v[154:155]
	v_fma_f64 v[102:103], v[84:85], s[22:23], -v[98:99]
	v_fma_f64 v[98:99], v[84:85], s[22:23], v[98:99]
	s_delay_alu instid0(VALU_DEP_4) | instskip(SKIP_1) | instid1(VALU_DEP_4)
	v_fma_f64 v[154:155], v[88:89], s[22:23], v[152:153]
	v_fma_f64 v[152:153], v[88:89], s[22:23], -v[152:153]
	v_add_f64 v[102:103], v[102:103], v[158:159]
	s_delay_alu instid0(VALU_DEP_4) | instskip(SKIP_1) | instid1(VALU_DEP_4)
	v_add_f64 v[98:99], v[98:99], v[156:157]
	v_mul_f64 v[156:157], v[76:77], s[40:41]
	v_add_f64 v[152:153], v[152:153], v[162:163]
	v_mul_f64 v[162:163], v[80:81], s[40:41]
	v_add_f64 v[154:155], v[154:155], v[164:165]
	s_delay_alu instid0(VALU_DEP_4) | instskip(SKIP_1) | instid1(VALU_DEP_4)
	v_fma_f64 v[158:159], v[84:85], s[2:3], -v[156:157]
	v_fma_f64 v[156:157], v[84:85], s[2:3], v[156:157]
	v_fma_f64 v[164:165], v[88:89], s[2:3], v[162:163]
	v_fma_f64 v[162:163], v[88:89], s[2:3], -v[162:163]
	s_delay_alu instid0(VALU_DEP_4) | instskip(NEXT) | instid1(VALU_DEP_4)
	v_add_f64 v[158:159], v[158:159], v[168:169]
	v_add_f64 v[156:157], v[156:157], v[166:167]
	v_mul_f64 v[166:167], v[76:77], s[42:43]
	v_mul_f64 v[76:77], v[76:77], s[36:37]
	v_add_f64 v[162:163], v[162:163], v[170:171]
	v_mul_f64 v[170:171], v[80:81], s[42:43]
	v_mul_f64 v[80:81], v[80:81], s[36:37]
	v_add_f64 v[164:165], v[164:165], v[172:173]
	v_fma_f64 v[168:169], v[84:85], s[28:29], -v[166:167]
	v_fma_f64 v[166:167], v[84:85], s[28:29], v[166:167]
	v_fma_f64 v[172:173], v[88:89], s[28:29], v[170:171]
	v_fma_f64 v[170:171], v[88:89], s[28:29], -v[170:171]
	s_delay_alu instid0(VALU_DEP_4) | instskip(NEXT) | instid1(VALU_DEP_4)
	v_add_f64 v[168:169], v[168:169], v[176:177]
	v_add_f64 v[166:167], v[166:167], v[174:175]
	v_fma_f64 v[174:175], v[84:85], s[16:17], -v[76:77]
	v_fma_f64 v[76:77], v[84:85], s[16:17], v[76:77]
	v_fma_f64 v[176:177], v[88:89], s[16:17], v[80:81]
	v_add_f64 v[170:171], v[170:171], v[178:179]
	v_add_f64 v[172:173], v[172:173], v[180:181]
	;; [unrolled: 1-line block ×4, first 2 shown]
	v_fma_f64 v[76:77], v[88:89], s[16:17], -v[80:81]
	v_add_f64 v[88:89], v[68:69], v[70:71]
	v_add_f64 v[68:69], v[68:69], -v[70:71]
	v_add_f64 v[160:161], v[176:177], v[160:161]
	s_delay_alu instid0(VALU_DEP_4) | instskip(SKIP_3) | instid1(VALU_DEP_2)
	v_add_f64 v[58:59], v[76:77], v[58:59]
	v_add_f64 v[76:77], v[72:73], v[74:75]
	v_add_f64 v[72:73], v[72:73], -v[74:75]
	v_mul_f64 v[70:71], v[68:69], s[26:27]
	v_mul_f64 v[80:81], v[72:73], s[26:27]
	s_delay_alu instid0(VALU_DEP_2) | instskip(SKIP_1) | instid1(VALU_DEP_2)
	v_fma_f64 v[74:75], v[76:77], s[24:25], -v[70:71]
	v_fma_f64 v[70:71], v[76:77], s[24:25], v[70:71]
	v_add_f64 v[74:75], v[74:75], v[82:83]
	s_delay_alu instid0(VALU_DEP_2) | instskip(SKIP_2) | instid1(VALU_DEP_2)
	v_add_f64 v[70:71], v[70:71], v[78:79]
	v_fma_f64 v[78:79], v[88:89], s[24:25], -v[80:81]
	v_fma_f64 v[82:83], v[88:89], s[24:25], v[80:81]
	v_add_f64 v[178:179], v[78:79], v[86:87]
	v_mul_f64 v[78:79], v[68:69], s[20:21]
	s_delay_alu instid0(VALU_DEP_3) | instskip(NEXT) | instid1(VALU_DEP_2)
	v_add_f64 v[176:177], v[82:83], v[92:93]
	v_fma_f64 v[80:81], v[76:77], s[2:3], -v[78:79]
	v_fma_f64 v[78:79], v[76:77], s[2:3], v[78:79]
	s_delay_alu instid0(VALU_DEP_2) | instskip(SKIP_1) | instid1(VALU_DEP_3)
	v_add_f64 v[180:181], v[80:81], v[94:95]
	v_mul_f64 v[80:81], v[72:73], s[20:21]
	v_add_f64 v[182:183], v[78:79], v[90:91]
	s_delay_alu instid0(VALU_DEP_2) | instskip(SKIP_1) | instid1(VALU_DEP_2)
	v_fma_f64 v[78:79], v[88:89], s[2:3], -v[80:81]
	v_fma_f64 v[82:83], v[88:89], s[2:3], v[80:81]
	v_add_f64 v[184:185], v[78:79], v[96:97]
	v_mul_f64 v[78:79], v[68:69], s[34:35]
	s_delay_alu instid0(VALU_DEP_3) | instskip(NEXT) | instid1(VALU_DEP_2)
	v_add_f64 v[100:101], v[82:83], v[100:101]
	v_fma_f64 v[80:81], v[76:77], s[16:17], -v[78:79]
	v_fma_f64 v[78:79], v[76:77], s[16:17], v[78:79]
	s_delay_alu instid0(VALU_DEP_2) | instskip(SKIP_1) | instid1(VALU_DEP_3)
	v_add_f64 v[102:103], v[80:81], v[102:103]
	v_mul_f64 v[80:81], v[72:73], s[34:35]
	v_add_f64 v[186:187], v[78:79], v[98:99]
	v_add_f64 v[98:99], v[60:61], -v[62:63]
	s_delay_alu instid0(VALU_DEP_3) | instskip(SKIP_1) | instid1(VALU_DEP_2)
	v_fma_f64 v[78:79], v[88:89], s[16:17], -v[80:81]
	v_fma_f64 v[82:83], v[88:89], s[16:17], v[80:81]
	v_add_f64 v[152:153], v[78:79], v[152:153]
	v_mul_f64 v[78:79], v[68:69], s[42:43]
	s_delay_alu instid0(VALU_DEP_3) | instskip(NEXT) | instid1(VALU_DEP_2)
	v_add_f64 v[154:155], v[82:83], v[154:155]
	v_fma_f64 v[80:81], v[76:77], s[28:29], -v[78:79]
	v_fma_f64 v[78:79], v[76:77], s[28:29], v[78:79]
	s_delay_alu instid0(VALU_DEP_2) | instskip(SKIP_1) | instid1(VALU_DEP_3)
	v_add_f64 v[158:159], v[80:81], v[158:159]
	v_mul_f64 v[80:81], v[72:73], s[42:43]
	v_add_f64 v[156:157], v[78:79], v[156:157]
	s_delay_alu instid0(VALU_DEP_2) | instskip(SKIP_1) | instid1(VALU_DEP_2)
	v_fma_f64 v[78:79], v[88:89], s[28:29], -v[80:81]
	v_fma_f64 v[82:83], v[88:89], s[28:29], v[80:81]
	v_add_f64 v[162:163], v[78:79], v[162:163]
	v_mul_f64 v[78:79], v[68:69], s[38:39]
	v_mul_f64 v[68:69], v[68:69], s[18:19]
	s_delay_alu instid0(VALU_DEP_4) | instskip(NEXT) | instid1(VALU_DEP_3)
	v_add_f64 v[164:165], v[82:83], v[164:165]
	v_fma_f64 v[80:81], v[76:77], s[22:23], -v[78:79]
	v_fma_f64 v[78:79], v[76:77], s[22:23], v[78:79]
	s_delay_alu instid0(VALU_DEP_2) | instskip(SKIP_1) | instid1(VALU_DEP_3)
	v_add_f64 v[96:97], v[80:81], v[168:169]
	v_mul_f64 v[80:81], v[72:73], s[38:39]
	v_add_f64 v[92:93], v[78:79], v[166:167]
	v_mul_f64 v[72:73], v[72:73], s[18:19]
	s_delay_alu instid0(VALU_DEP_3) | instskip(SKIP_1) | instid1(VALU_DEP_2)
	v_fma_f64 v[78:79], v[88:89], s[22:23], -v[80:81]
	v_fma_f64 v[82:83], v[88:89], s[22:23], v[80:81]
	v_add_f64 v[90:91], v[78:79], v[170:171]
	v_fma_f64 v[78:79], v[76:77], s[14:15], -v[68:69]
	v_fma_f64 v[68:69], v[76:77], s[14:15], v[68:69]
	s_delay_alu instid0(VALU_DEP_4) | instskip(SKIP_1) | instid1(VALU_DEP_4)
	v_add_f64 v[94:95], v[82:83], v[172:173]
	v_add_f64 v[82:83], v[64:65], v[66:67]
	v_add_f64 v[86:87], v[78:79], v[174:175]
	v_fma_f64 v[78:79], v[88:89], s[14:15], v[72:73]
	v_add_f64 v[80:81], v[68:69], v[56:57]
	v_fma_f64 v[56:57], v[88:89], s[14:15], -v[72:73]
	v_add_f64 v[88:89], v[64:65], -v[66:67]
	v_mul_f64 v[68:69], v[98:99], s[38:39]
	v_add_f64 v[84:85], v[78:79], v[160:161]
	v_add_f64 v[78:79], v[60:61], v[62:63]
	v_mul_f64 v[60:61], v[98:99], s[30:31]
	v_add_f64 v[76:77], v[56:57], v[58:59]
	v_mul_f64 v[160:161], v[98:99], s[36:37]
	v_mul_f64 v[62:63], v[88:89], s[30:31]
	v_fma_f64 v[64:65], v[82:83], s[22:23], -v[68:69]
	v_fma_f64 v[68:69], v[82:83], s[22:23], v[68:69]
	v_fma_f64 v[56:57], v[82:83], s[28:29], -v[60:61]
	v_fma_f64 v[60:61], v[82:83], s[28:29], v[60:61]
	v_fma_f64 v[58:59], v[78:79], s[28:29], v[62:63]
	v_fma_f64 v[62:63], v[78:79], s[28:29], -v[62:63]
	v_add_f64 v[64:65], v[64:65], v[180:181]
	v_add_f64 v[68:69], v[68:69], v[182:183]
	;; [unrolled: 1-line block ×4, first 2 shown]
	v_mul_f64 v[70:71], v[88:89], s[38:39]
	v_add_f64 v[58:59], v[58:59], v[176:177]
	v_add_f64 v[62:63], v[62:63], v[178:179]
	s_delay_alu instid0(VALU_DEP_3) | instskip(SKIP_1) | instid1(VALU_DEP_2)
	v_fma_f64 v[66:67], v[78:79], s[22:23], v[70:71]
	v_fma_f64 v[70:71], v[78:79], s[22:23], -v[70:71]
	v_add_f64 v[66:67], v[66:67], v[100:101]
	v_mul_f64 v[100:101], v[98:99], s[26:27]
	s_delay_alu instid0(VALU_DEP_3) | instskip(NEXT) | instid1(VALU_DEP_2)
	v_add_f64 v[70:71], v[70:71], v[184:185]
	v_fma_f64 v[72:73], v[82:83], s[24:25], -v[100:101]
	v_fma_f64 v[100:101], v[82:83], s[24:25], v[100:101]
	s_delay_alu instid0(VALU_DEP_2) | instskip(SKIP_1) | instid1(VALU_DEP_3)
	v_add_f64 v[72:73], v[72:73], v[102:103]
	v_mul_f64 v[102:103], v[88:89], s[26:27]
	v_add_f64 v[100:101], v[100:101], v[186:187]
	s_delay_alu instid0(VALU_DEP_2) | instskip(SKIP_1) | instid1(VALU_DEP_2)
	v_fma_f64 v[74:75], v[78:79], s[24:25], v[102:103]
	v_fma_f64 v[102:103], v[78:79], s[24:25], -v[102:103]
	v_add_f64 v[74:75], v[74:75], v[154:155]
	s_delay_alu instid0(VALU_DEP_2) | instskip(SKIP_2) | instid1(VALU_DEP_2)
	v_add_f64 v[102:103], v[102:103], v[152:153]
	v_fma_f64 v[152:153], v[82:83], s[16:17], -v[160:161]
	v_fma_f64 v[160:161], v[82:83], s[16:17], v[160:161]
	v_add_f64 v[152:153], v[152:153], v[158:159]
	v_mul_f64 v[158:159], v[88:89], s[36:37]
	s_delay_alu instid0(VALU_DEP_3) | instskip(NEXT) | instid1(VALU_DEP_2)
	v_add_f64 v[156:157], v[160:161], v[156:157]
	v_fma_f64 v[154:155], v[78:79], s[16:17], v[158:159]
	v_fma_f64 v[158:159], v[78:79], s[16:17], -v[158:159]
	s_delay_alu instid0(VALU_DEP_2) | instskip(SKIP_1) | instid1(VALU_DEP_3)
	v_add_f64 v[154:155], v[154:155], v[164:165]
	v_mul_f64 v[164:165], v[98:99], s[18:19]
	v_add_f64 v[158:159], v[158:159], v[162:163]
	s_delay_alu instid0(VALU_DEP_2) | instskip(NEXT) | instid1(VALU_DEP_1)
	v_fma_f64 v[160:161], v[82:83], s[14:15], -v[164:165]
	v_add_f64 v[160:161], v[160:161], v[96:97]
	v_mul_f64 v[96:97], v[88:89], s[18:19]
	s_delay_alu instid0(VALU_DEP_1) | instskip(NEXT) | instid1(VALU_DEP_1)
	v_fma_f64 v[162:163], v[78:79], s[14:15], v[96:97]
	v_add_f64 v[162:163], v[162:163], v[94:95]
	v_fma_f64 v[94:95], v[82:83], s[14:15], v[164:165]
	s_delay_alu instid0(VALU_DEP_1) | instskip(SKIP_1) | instid1(VALU_DEP_1)
	v_add_f64 v[92:93], v[94:95], v[92:93]
	v_fma_f64 v[94:95], v[78:79], s[14:15], -v[96:97]
	v_add_f64 v[94:95], v[94:95], v[90:91]
	v_mul_f64 v[90:91], v[98:99], s[20:21]
	s_delay_alu instid0(VALU_DEP_1) | instskip(SKIP_1) | instid1(VALU_DEP_2)
	v_fma_f64 v[96:97], v[82:83], s[2:3], -v[90:91]
	v_fma_f64 v[82:83], v[82:83], s[2:3], v[90:91]
	v_add_f64 v[86:87], v[96:97], v[86:87]
	v_mul_f64 v[96:97], v[88:89], s[20:21]
	s_delay_alu instid0(VALU_DEP_3) | instskip(NEXT) | instid1(VALU_DEP_2)
	v_add_f64 v[80:81], v[82:83], v[80:81]
	v_fma_f64 v[88:89], v[78:79], s[2:3], v[96:97]
	v_fma_f64 v[78:79], v[78:79], s[2:3], -v[96:97]
	s_delay_alu instid0(VALU_DEP_2) | instskip(NEXT) | instid1(VALU_DEP_2)
	v_add_f64 v[88:89], v[88:89], v[84:85]
	v_add_f64 v[82:83], v[78:79], v[76:77]
	v_lshrrev_b32_e32 v76, 1, v240
	s_delay_alu instid0(VALU_DEP_1) | instskip(NEXT) | instid1(VALU_DEP_1)
	v_mul_u32_u24_e32 v76, 26, v76
	v_or_b32_e32 v76, v76, v196
	s_delay_alu instid0(VALU_DEP_1)
	v_lshlrev_b32_e32 v236, 4, v76
	ds_store_b128 v236, v[0:3]
	ds_store_b128 v236, v[28:31] offset:32
	ds_store_b128 v236, v[16:19] offset:64
	;; [unrolled: 1-line block ×12, first 2 shown]
	v_lshrrev_b32_e32 v0, 1, v200
	s_delay_alu instid0(VALU_DEP_1) | instskip(NEXT) | instid1(VALU_DEP_1)
	v_mul_u32_u24_e32 v0, 26, v0
	v_or_b32_e32 v0, v0, v196
	s_delay_alu instid0(VALU_DEP_1)
	v_lshlrev_b32_e32 v235, 4, v0
	ds_store_b128 v235, v[52:55]
	ds_store_b128 v235, v[56:59] offset:32
	ds_store_b128 v235, v[64:67] offset:64
	;; [unrolled: 1-line block ×12, first 2 shown]
	v_mul_i32_i24_e32 v153, 0xc0, v201
	v_mul_hi_i32_i24_e32 v152, 0xc0, v201
	s_waitcnt lgkmcnt(0)
	s_barrier
	buffer_gl0_inv
	v_add_co_u32 v168, s0, s10, v153
	s_delay_alu instid0(VALU_DEP_1)
	v_add_co_ci_u32_e64 v169, s0, s11, v152, s0
	ds_load_b128 v[4:7], v234
	ds_load_b128 v[88:91], v234 offset:1664
	ds_load_b128 v[92:95], v234 offset:3328
	;; [unrolled: 1-line block ×25, first 2 shown]
	s_clause 0x3
	global_load_b128 v[158:161], v[168:169], off offset:432
	global_load_b128 v[154:157], v[168:169], off offset:416
	global_load_b128 v[162:165], v[168:169], off offset:400
	global_load_b128 v[170:173], v[168:169], off offset:384
	v_cmp_lt_u16_e64 s0, 25, v198
	s_waitcnt vmcnt(3)
	scratch_store_b128 off, v[158:161], off offset:456 ; 16-byte Folded Spill
	s_waitcnt vmcnt(2)
	scratch_store_b128 off, v[154:157], off offset:472 ; 16-byte Folded Spill
	s_waitcnt vmcnt(1)
	scratch_store_b128 off, v[162:165], off offset:488 ; 16-byte Folded Spill
	s_waitcnt vmcnt(0) lgkmcnt(24)
	v_mul_f64 v[152:153], v[90:91], v[172:173]
	scratch_store_b128 off, v[170:173], off offset:552 ; 16-byte Folded Spill
	v_fma_f64 v[203:204], v[88:89], v[170:171], -v[152:153]
	v_mul_f64 v[88:89], v[88:89], v[172:173]
	s_delay_alu instid0(VALU_DEP_1) | instskip(SKIP_2) | instid1(VALU_DEP_1)
	v_fma_f64 v[196:197], v[90:91], v[170:171], v[88:89]
	s_waitcnt lgkmcnt(23)
	v_mul_f64 v[88:89], v[94:95], v[164:165]
	v_fma_f64 v[178:179], v[92:93], v[162:163], -v[88:89]
	v_mul_f64 v[88:89], v[92:93], v[164:165]
	s_delay_alu instid0(VALU_DEP_1) | instskip(SKIP_2) | instid1(VALU_DEP_1)
	v_fma_f64 v[180:181], v[94:95], v[162:163], v[88:89]
	s_waitcnt lgkmcnt(22)
	v_mul_f64 v[88:89], v[98:99], v[156:157]
	;; [unrolled: 6-line block ×3, first 2 shown]
	v_fma_f64 v[156:157], v[100:101], v[158:159], -v[88:89]
	v_mul_f64 v[88:89], v[100:101], v[160:161]
	s_clause 0x3
	global_load_b128 v[90:93], v[168:169], off offset:496
	global_load_b128 v[94:97], v[168:169], off offset:480
	global_load_b128 v[98:101], v[168:169], off offset:464
	global_load_b128 v[152:155], v[168:169], off offset:448
	v_fma_f64 v[158:159], v[102:103], v[158:159], v[88:89]
	s_waitcnt vmcnt(3)
	scratch_store_b128 off, v[90:93], off offset:504 ; 16-byte Folded Spill
	s_waitcnt vmcnt(2)
	scratch_store_b128 off, v[94:97], off offset:520 ; 16-byte Folded Spill
	;; [unrolled: 2-line block ×3, first 2 shown]
	s_waitcnt vmcnt(0) lgkmcnt(20)
	v_mul_f64 v[88:89], v[86:87], v[154:155]
	scratch_store_b128 off, v[152:155], off offset:568 ; 16-byte Folded Spill
	v_fma_f64 v[164:165], v[84:85], v[152:153], -v[88:89]
	v_mul_f64 v[84:85], v[84:85], v[154:155]
	s_delay_alu instid0(VALU_DEP_1) | instskip(SKIP_2) | instid1(VALU_DEP_1)
	v_fma_f64 v[166:167], v[86:87], v[152:153], v[84:85]
	s_waitcnt lgkmcnt(19)
	v_mul_f64 v[84:85], v[82:83], v[100:101]
	v_fma_f64 v[152:153], v[80:81], v[98:99], -v[84:85]
	v_mul_f64 v[80:81], v[80:81], v[100:101]
	s_delay_alu instid0(VALU_DEP_1) | instskip(SKIP_2) | instid1(VALU_DEP_1)
	v_fma_f64 v[154:155], v[82:83], v[98:99], v[80:81]
	s_waitcnt lgkmcnt(18)
	v_mul_f64 v[80:81], v[78:79], v[96:97]
	;; [unrolled: 6-line block ×3, first 2 shown]
	v_fma_f64 v[174:175], v[72:73], v[90:91], -v[76:77]
	v_mul_f64 v[72:73], v[72:73], v[92:93]
	s_delay_alu instid0(VALU_DEP_1)
	v_fma_f64 v[176:177], v[74:75], v[90:91], v[72:73]
	s_clause 0x3
	global_load_b128 v[74:77], v[168:169], off offset:560
	global_load_b128 v[78:81], v[168:169], off offset:544
	;; [unrolled: 1-line block ×4, first 2 shown]
	s_waitcnt vmcnt(3)
	scratch_store_b128 off, v[74:77], off offset:584 ; 16-byte Folded Spill
	s_waitcnt vmcnt(2)
	scratch_store_b128 off, v[78:81], off offset:600 ; 16-byte Folded Spill
	;; [unrolled: 2-line block ×3, first 2 shown]
	s_waitcnt vmcnt(0) lgkmcnt(16)
	v_mul_f64 v[72:73], v[70:71], v[88:89]
	scratch_store_b128 off, v[86:89], off offset:632 ; 16-byte Folded Spill
	v_fma_f64 v[182:183], v[68:69], v[86:87], -v[72:73]
	v_mul_f64 v[68:69], v[68:69], v[88:89]
	s_delay_alu instid0(VALU_DEP_1) | instskip(SKIP_2) | instid1(VALU_DEP_1)
	v_fma_f64 v[184:185], v[70:71], v[86:87], v[68:69]
	s_waitcnt lgkmcnt(15)
	v_mul_f64 v[68:69], v[66:67], v[84:85]
	v_fma_f64 v[188:189], v[64:65], v[82:83], -v[68:69]
	v_mul_f64 v[64:65], v[64:65], v[84:85]
	s_delay_alu instid0(VALU_DEP_1) | instskip(SKIP_2) | instid1(VALU_DEP_1)
	v_fma_f64 v[190:191], v[66:67], v[82:83], v[64:65]
	s_waitcnt lgkmcnt(14)
	v_mul_f64 v[64:65], v[62:63], v[80:81]
	;; [unrolled: 6-line block ×3, first 2 shown]
	v_fma_f64 v[205:206], v[52:53], v[74:75], -v[60:61]
	v_mul_f64 v[52:53], v[52:53], v[76:77]
	s_delay_alu instid0(VALU_DEP_1) | instskip(SKIP_1) | instid1(VALU_DEP_1)
	v_fma_f64 v[52:53], v[54:55], v[74:75], v[52:53]
	v_and_b32_e32 v54, 0xff, v200
	v_mul_lo_u16 v54, 0x4f, v54
	s_delay_alu instid0(VALU_DEP_1) | instskip(NEXT) | instid1(VALU_DEP_1)
	v_lshrrev_b16 v202, 11, v54
	v_mul_lo_u16 v54, v202, 26
	s_delay_alu instid0(VALU_DEP_1) | instskip(NEXT) | instid1(VALU_DEP_1)
	v_sub_nc_u16 v54, v200, v54
	v_and_b32_e32 v200, 0xff, v54
	s_delay_alu instid0(VALU_DEP_1)
	v_mad_u64_u32 v[54:55], null, 0xc0, v200, s[10:11]
	s_clause 0x3
	global_load_b128 v[62:65], v[54:55], off offset:432
	global_load_b128 v[66:69], v[54:55], off offset:416
	;; [unrolled: 1-line block ×4, first 2 shown]
	s_waitcnt vmcnt(3)
	scratch_store_b128 off, v[62:65], off offset:648 ; 16-byte Folded Spill
	s_waitcnt vmcnt(2)
	scratch_store_b128 off, v[66:69], off offset:664 ; 16-byte Folded Spill
	;; [unrolled: 2-line block ×3, first 2 shown]
	s_waitcnt vmcnt(0) lgkmcnt(11)
	v_mul_f64 v[60:61], v[50:51], v[76:77]
	scratch_store_b128 off, v[74:77], off offset:696 ; 16-byte Folded Spill
	v_fma_f64 v[168:169], v[48:49], v[74:75], -v[60:61]
	v_mul_f64 v[48:49], v[48:49], v[76:77]
	s_delay_alu instid0(VALU_DEP_1) | instskip(SKIP_2) | instid1(VALU_DEP_1)
	v_fma_f64 v[100:101], v[50:51], v[74:75], v[48:49]
	s_waitcnt lgkmcnt(10)
	v_mul_f64 v[48:49], v[46:47], v[72:73]
	v_fma_f64 v[96:97], v[44:45], v[70:71], -v[48:49]
	v_mul_f64 v[44:45], v[44:45], v[72:73]
	s_delay_alu instid0(VALU_DEP_1) | instskip(SKIP_2) | instid1(VALU_DEP_1)
	v_fma_f64 v[90:91], v[46:47], v[70:71], v[44:45]
	s_waitcnt lgkmcnt(9)
	v_mul_f64 v[44:45], v[42:43], v[68:69]
	;; [unrolled: 6-line block ×3, first 2 shown]
	v_fma_f64 v[78:79], v[36:37], v[62:63], -v[40:41]
	v_mul_f64 v[36:37], v[36:37], v[64:65]
	s_delay_alu instid0(VALU_DEP_1)
	v_fma_f64 v[76:77], v[38:39], v[62:63], v[36:37]
	s_clause 0x3
	global_load_b128 v[38:41], v[54:55], off offset:496
	global_load_b128 v[42:45], v[54:55], off offset:480
	;; [unrolled: 1-line block ×4, first 2 shown]
	s_waitcnt vmcnt(3)
	scratch_store_b128 off, v[38:41], off offset:712 ; 16-byte Folded Spill
	s_waitcnt vmcnt(2)
	scratch_store_b128 off, v[42:45], off offset:728 ; 16-byte Folded Spill
	;; [unrolled: 2-line block ×3, first 2 shown]
	s_waitcnt vmcnt(0) lgkmcnt(7)
	v_mul_f64 v[36:37], v[34:35], v[62:63]
	scratch_store_b128 off, v[60:63], off offset:760 ; 16-byte Folded Spill
	v_fma_f64 v[72:73], v[32:33], v[60:61], -v[36:37]
	v_mul_f64 v[32:33], v[32:33], v[62:63]
	s_delay_alu instid0(VALU_DEP_1) | instskip(SKIP_2) | instid1(VALU_DEP_1)
	v_fma_f64 v[68:69], v[34:35], v[60:61], v[32:33]
	s_waitcnt lgkmcnt(6)
	v_mul_f64 v[32:33], v[30:31], v[48:49]
	v_fma_f64 v[64:65], v[28:29], v[46:47], -v[32:33]
	v_mul_f64 v[28:29], v[28:29], v[48:49]
	s_delay_alu instid0(VALU_DEP_1) | instskip(SKIP_2) | instid1(VALU_DEP_1)
	v_fma_f64 v[60:61], v[30:31], v[46:47], v[28:29]
	s_waitcnt lgkmcnt(5)
	v_mul_f64 v[28:29], v[26:27], v[44:45]
	;; [unrolled: 6-line block ×3, first 2 shown]
	v_fma_f64 v[74:75], v[20:21], v[38:39], -v[24:25]
	v_mul_f64 v[20:21], v[20:21], v[40:41]
	s_delay_alu instid0(VALU_DEP_1)
	v_fma_f64 v[70:71], v[22:23], v[38:39], v[20:21]
	s_clause 0x3
	global_load_b128 v[22:25], v[54:55], off offset:560
	global_load_b128 v[26:29], v[54:55], off offset:544
	;; [unrolled: 1-line block ×4, first 2 shown]
	s_waitcnt vmcnt(3)
	scratch_store_b128 off, v[22:25], off offset:776 ; 16-byte Folded Spill
	s_waitcnt vmcnt(2)
	scratch_store_b128 off, v[26:29], off offset:792 ; 16-byte Folded Spill
	s_waitcnt vmcnt(1)
	scratch_store_b128 off, v[30:33], off offset:808 ; 16-byte Folded Spill
	s_waitcnt vmcnt(0) lgkmcnt(3)
	v_mul_f64 v[20:21], v[18:19], v[36:37]
	scratch_store_b128 off, v[34:37], off offset:824 ; 16-byte Folded Spill
	s_waitcnt lgkmcnt(0)
	s_waitcnt_vscnt null, 0x0
	s_barrier
	buffer_gl0_inv
	v_fma_f64 v[84:85], v[16:17], v[34:35], -v[20:21]
	v_mul_f64 v[16:17], v[16:17], v[36:37]
	s_delay_alu instid0(VALU_DEP_1) | instskip(SKIP_1) | instid1(VALU_DEP_1)
	v_fma_f64 v[80:81], v[18:19], v[34:35], v[16:17]
	v_mul_f64 v[16:17], v[14:15], v[32:33]
	v_fma_f64 v[92:93], v[12:13], v[30:31], -v[16:17]
	v_mul_f64 v[12:13], v[12:13], v[32:33]
	s_delay_alu instid0(VALU_DEP_1) | instskip(SKIP_2) | instid1(VALU_DEP_2)
	v_fma_f64 v[88:89], v[14:15], v[30:31], v[12:13]
	v_mul_f64 v[12:13], v[10:11], v[28:29]
	v_add_f64 v[14:15], v[196:197], -v[52:53]
	v_fma_f64 v[98:99], v[8:9], v[26:27], -v[12:13]
	v_mul_f64 v[8:9], v[8:9], v[28:29]
	v_add_f64 v[12:13], v[203:204], -v[205:206]
	s_delay_alu instid0(VALU_DEP_4)
	v_mul_f64 v[16:17], v[14:15], s[48:49]
	v_mul_f64 v[32:33], v[14:15], s[40:41]
	;; [unrolled: 1-line block ×4, first 2 shown]
	v_fma_f64 v[94:95], v[10:11], v[26:27], v[8:9]
	v_mul_f64 v[8:9], v[2:3], v[24:25]
	v_add_f64 v[10:11], v[196:197], v[52:53]
	v_mul_f64 v[20:21], v[12:13], s[48:49]
	v_mul_f64 v[28:29], v[12:13], s[34:35]
	;; [unrolled: 1-line block ×4, first 2 shown]
	v_fma_f64 v[186:187], v[0:1], v[22:23], -v[8:9]
	v_mul_f64 v[0:1], v[0:1], v[24:25]
	v_add_f64 v[8:9], v[203:204], v[205:206]
	v_mul_f64 v[24:25], v[14:15], s[34:35]
	v_mul_f64 v[14:15], v[14:15], s[30:31]
	v_fma_f64 v[30:31], v[10:11], s[16:17], v[28:29]
	v_fma_f64 v[28:29], v[10:11], s[16:17], -v[28:29]
	v_fma_f64 v[38:39], v[10:11], s[2:3], v[36:37]
	v_fma_f64 v[36:37], v[10:11], s[2:3], -v[36:37]
	;; [unrolled: 2-line block ×3, first 2 shown]
	v_fma_f64 v[102:103], v[2:3], v[22:23], v[0:1]
	v_add_f64 v[2:3], v[6:7], v[196:197]
	v_add_f64 v[0:1], v[4:5], v[203:204]
	v_fma_f64 v[18:19], v[8:9], s[22:23], -v[16:17]
	v_fma_f64 v[16:17], v[8:9], s[22:23], v[16:17]
	v_fma_f64 v[26:27], v[8:9], s[16:17], -v[24:25]
	v_fma_f64 v[24:25], v[8:9], s[16:17], v[24:25]
	;; [unrolled: 2-line block ×6, first 2 shown]
	v_fma_f64 v[22:23], v[10:11], s[22:23], v[20:21]
	v_fma_f64 v[20:21], v[10:11], s[22:23], -v[20:21]
	v_add_f64 v[14:15], v[180:181], -v[194:195]
	v_add_f64 v[30:31], v[6:7], v[30:31]
	v_add_f64 v[28:29], v[6:7], v[28:29]
	;; [unrolled: 1-line block ×24, first 2 shown]
	s_delay_alu instid0(VALU_DEP_2) | instskip(NEXT) | instid1(VALU_DEP_2)
	v_add_f64 v[2:3], v[2:3], v[158:159]
	v_add_f64 v[0:1], v[0:1], v[156:157]
	s_delay_alu instid0(VALU_DEP_2) | instskip(NEXT) | instid1(VALU_DEP_2)
	v_add_f64 v[2:3], v[2:3], v[166:167]
	v_add_f64 v[0:1], v[0:1], v[164:165]
	;; [unrolled: 3-line block ×8, first 2 shown]
	s_delay_alu instid0(VALU_DEP_2) | instskip(SKIP_2) | instid1(VALU_DEP_4)
	v_add_f64 v[2:3], v[2:3], v[52:53]
	v_mul_f64 v[52:53], v[12:13], s[26:27]
	v_mul_f64 v[12:13], v[12:13], s[30:31]
	v_add_f64 v[0:1], v[0:1], v[205:206]
	s_delay_alu instid0(VALU_DEP_3) | instskip(SKIP_1) | instid1(VALU_DEP_4)
	v_fma_f64 v[54:55], v[10:11], s[24:25], v[52:53]
	v_fma_f64 v[52:53], v[10:11], s[24:25], -v[52:53]
	v_fma_f64 v[203:204], v[10:11], s[28:29], v[12:13]
	v_fma_f64 v[8:9], v[10:11], s[28:29], -v[12:13]
	v_add_f64 v[12:13], v[178:179], -v[192:193]
	v_add_f64 v[10:11], v[180:181], v[194:195]
	v_add_f64 v[194:195], v[100:101], -v[102:103]
	v_add_f64 v[54:55], v[6:7], v[54:55]
	v_add_f64 v[52:53], v[6:7], v[52:53]
	;; [unrolled: 1-line block ×5, first 2 shown]
	v_mul_f64 v[178:179], v[14:15], s[34:35]
	s_delay_alu instid0(VALU_DEP_1) | instskip(SKIP_1) | instid1(VALU_DEP_2)
	v_fma_f64 v[180:181], v[8:9], s[16:17], -v[178:179]
	v_fma_f64 v[178:179], v[8:9], s[16:17], v[178:179]
	v_add_f64 v[18:19], v[180:181], v[18:19]
	v_mul_f64 v[180:181], v[12:13], s[34:35]
	s_delay_alu instid0(VALU_DEP_3) | instskip(NEXT) | instid1(VALU_DEP_2)
	v_add_f64 v[16:17], v[178:179], v[16:17]
	v_fma_f64 v[178:179], v[10:11], s[16:17], -v[180:181]
	v_fma_f64 v[192:193], v[10:11], s[16:17], v[180:181]
	s_delay_alu instid0(VALU_DEP_2) | instskip(SKIP_1) | instid1(VALU_DEP_3)
	v_add_f64 v[20:21], v[178:179], v[20:21]
	v_mul_f64 v[178:179], v[14:15], s[18:19]
	v_add_f64 v[22:23], v[192:193], v[22:23]
	s_delay_alu instid0(VALU_DEP_2) | instskip(SKIP_1) | instid1(VALU_DEP_2)
	v_fma_f64 v[180:181], v[8:9], s[14:15], -v[178:179]
	v_fma_f64 v[178:179], v[8:9], s[14:15], v[178:179]
	v_add_f64 v[26:27], v[180:181], v[26:27]
	v_mul_f64 v[180:181], v[12:13], s[18:19]
	s_delay_alu instid0(VALU_DEP_3) | instskip(NEXT) | instid1(VALU_DEP_2)
	v_add_f64 v[24:25], v[178:179], v[24:25]
	v_fma_f64 v[178:179], v[10:11], s[14:15], -v[180:181]
	v_fma_f64 v[192:193], v[10:11], s[14:15], v[180:181]
	s_delay_alu instid0(VALU_DEP_2) | instskip(SKIP_1) | instid1(VALU_DEP_3)
	v_add_f64 v[28:29], v[178:179], v[28:29]
	v_mul_f64 v[178:179], v[14:15], s[30:31]
	v_add_f64 v[30:31], v[192:193], v[30:31]
	s_delay_alu instid0(VALU_DEP_2) | instskip(SKIP_1) | instid1(VALU_DEP_2)
	;; [unrolled: 13-line block ×3, first 2 shown]
	v_fma_f64 v[180:181], v[8:9], s[24:25], -v[178:179]
	v_fma_f64 v[178:179], v[8:9], s[24:25], v[178:179]
	v_add_f64 v[42:43], v[180:181], v[42:43]
	v_mul_f64 v[180:181], v[12:13], s[44:45]
	s_delay_alu instid0(VALU_DEP_3) | instskip(NEXT) | instid1(VALU_DEP_2)
	v_add_f64 v[40:41], v[178:179], v[40:41]
	v_fma_f64 v[178:179], v[10:11], s[24:25], -v[180:181]
	v_fma_f64 v[192:193], v[10:11], s[24:25], v[180:181]
	s_delay_alu instid0(VALU_DEP_2) | instskip(SKIP_2) | instid1(VALU_DEP_4)
	v_add_f64 v[44:45], v[178:179], v[44:45]
	v_mul_f64 v[178:179], v[14:15], s[20:21]
	v_mul_f64 v[14:15], v[14:15], s[38:39]
	v_add_f64 v[46:47], v[192:193], v[46:47]
	s_delay_alu instid0(VALU_DEP_3) | instskip(SKIP_1) | instid1(VALU_DEP_2)
	v_fma_f64 v[180:181], v[8:9], s[2:3], -v[178:179]
	v_fma_f64 v[178:179], v[8:9], s[2:3], v[178:179]
	v_add_f64 v[50:51], v[180:181], v[50:51]
	v_mul_f64 v[180:181], v[12:13], s[20:21]
	s_delay_alu instid0(VALU_DEP_3) | instskip(SKIP_1) | instid1(VALU_DEP_3)
	v_add_f64 v[48:49], v[178:179], v[48:49]
	v_mul_f64 v[12:13], v[12:13], s[38:39]
	v_fma_f64 v[178:179], v[10:11], s[2:3], -v[180:181]
	v_fma_f64 v[192:193], v[10:11], s[2:3], v[180:181]
	s_delay_alu instid0(VALU_DEP_3) | instskip(NEXT) | instid1(VALU_DEP_3)
	v_fma_f64 v[180:181], v[10:11], s[22:23], v[12:13]
	v_add_f64 v[52:53], v[178:179], v[52:53]
	v_fma_f64 v[178:179], v[8:9], s[22:23], -v[14:15]
	v_fma_f64 v[8:9], v[8:9], s[22:23], v[14:15]
	v_add_f64 v[14:15], v[172:173], -v[190:191]
	v_add_f64 v[54:55], v[192:193], v[54:55]
	v_add_f64 v[180:181], v[180:181], v[203:204]
	;; [unrolled: 1-line block ×4, first 2 shown]
	v_fma_f64 v[8:9], v[10:11], s[22:23], -v[12:13]
	v_add_f64 v[12:13], v[170:171], -v[188:189]
	v_add_f64 v[10:11], v[172:173], v[190:191]
	v_mul_f64 v[190:191], v[194:195], s[26:27]
	v_mul_f64 v[196:197], v[194:195], s[30:31]
	v_add_f64 v[6:7], v[8:9], v[6:7]
	v_add_f64 v[8:9], v[170:171], v[188:189]
	v_mul_f64 v[170:171], v[14:15], s[40:41]
	s_delay_alu instid0(VALU_DEP_1) | instskip(SKIP_1) | instid1(VALU_DEP_2)
	v_fma_f64 v[172:173], v[8:9], s[2:3], -v[170:171]
	v_fma_f64 v[170:171], v[8:9], s[2:3], v[170:171]
	v_add_f64 v[18:19], v[172:173], v[18:19]
	v_mul_f64 v[172:173], v[12:13], s[40:41]
	s_delay_alu instid0(VALU_DEP_3) | instskip(NEXT) | instid1(VALU_DEP_2)
	v_add_f64 v[16:17], v[170:171], v[16:17]
	v_fma_f64 v[170:171], v[10:11], s[2:3], -v[172:173]
	v_fma_f64 v[188:189], v[10:11], s[2:3], v[172:173]
	s_delay_alu instid0(VALU_DEP_2) | instskip(SKIP_1) | instid1(VALU_DEP_3)
	v_add_f64 v[20:21], v[170:171], v[20:21]
	v_mul_f64 v[170:171], v[14:15], s[30:31]
	v_add_f64 v[22:23], v[188:189], v[22:23]
	s_delay_alu instid0(VALU_DEP_2) | instskip(SKIP_1) | instid1(VALU_DEP_2)
	v_fma_f64 v[172:173], v[8:9], s[28:29], -v[170:171]
	v_fma_f64 v[170:171], v[8:9], s[28:29], v[170:171]
	v_add_f64 v[26:27], v[172:173], v[26:27]
	v_mul_f64 v[172:173], v[12:13], s[30:31]
	s_delay_alu instid0(VALU_DEP_3) | instskip(NEXT) | instid1(VALU_DEP_2)
	v_add_f64 v[24:25], v[170:171], v[24:25]
	v_fma_f64 v[170:171], v[10:11], s[28:29], -v[172:173]
	v_fma_f64 v[188:189], v[10:11], s[28:29], v[172:173]
	s_delay_alu instid0(VALU_DEP_2) | instskip(SKIP_1) | instid1(VALU_DEP_3)
	v_add_f64 v[28:29], v[170:171], v[28:29]
	v_mul_f64 v[170:171], v[14:15], s[46:47]
	v_add_f64 v[30:31], v[188:189], v[30:31]
	s_delay_alu instid0(VALU_DEP_2) | instskip(SKIP_1) | instid1(VALU_DEP_2)
	;; [unrolled: 13-line block ×3, first 2 shown]
	v_fma_f64 v[172:173], v[8:9], s[22:23], -v[170:171]
	v_fma_f64 v[170:171], v[8:9], s[22:23], v[170:171]
	v_add_f64 v[42:43], v[172:173], v[42:43]
	v_mul_f64 v[172:173], v[12:13], s[38:39]
	s_delay_alu instid0(VALU_DEP_3) | instskip(NEXT) | instid1(VALU_DEP_2)
	v_add_f64 v[40:41], v[170:171], v[40:41]
	v_fma_f64 v[170:171], v[10:11], s[22:23], -v[172:173]
	v_fma_f64 v[188:189], v[10:11], s[22:23], v[172:173]
	s_delay_alu instid0(VALU_DEP_2) | instskip(SKIP_2) | instid1(VALU_DEP_4)
	v_add_f64 v[44:45], v[170:171], v[44:45]
	v_mul_f64 v[170:171], v[14:15], s[34:35]
	v_mul_f64 v[14:15], v[14:15], s[26:27]
	v_add_f64 v[46:47], v[188:189], v[46:47]
	s_delay_alu instid0(VALU_DEP_3) | instskip(SKIP_1) | instid1(VALU_DEP_2)
	v_fma_f64 v[172:173], v[8:9], s[16:17], -v[170:171]
	v_fma_f64 v[170:171], v[8:9], s[16:17], v[170:171]
	v_add_f64 v[50:51], v[172:173], v[50:51]
	v_mul_f64 v[172:173], v[12:13], s[34:35]
	s_delay_alu instid0(VALU_DEP_3) | instskip(SKIP_1) | instid1(VALU_DEP_3)
	v_add_f64 v[48:49], v[170:171], v[48:49]
	v_mul_f64 v[12:13], v[12:13], s[26:27]
	v_fma_f64 v[170:171], v[10:11], s[16:17], -v[172:173]
	v_fma_f64 v[188:189], v[10:11], s[16:17], v[172:173]
	s_delay_alu instid0(VALU_DEP_3) | instskip(NEXT) | instid1(VALU_DEP_3)
	v_fma_f64 v[172:173], v[10:11], s[24:25], v[12:13]
	v_add_f64 v[52:53], v[170:171], v[52:53]
	v_fma_f64 v[170:171], v[8:9], s[24:25], -v[14:15]
	v_fma_f64 v[8:9], v[8:9], s[24:25], v[14:15]
	v_add_f64 v[14:15], v[158:159], -v[184:185]
	v_add_f64 v[54:55], v[188:189], v[54:55]
	v_add_f64 v[172:173], v[172:173], v[180:181]
	v_add_f64 v[170:171], v[170:171], v[178:179]
	v_add_f64 v[4:5], v[8:9], v[4:5]
	v_fma_f64 v[8:9], v[10:11], s[24:25], -v[12:13]
	v_add_f64 v[12:13], v[156:157], -v[182:183]
	v_add_f64 v[10:11], v[158:159], v[184:185]
	s_delay_alu instid0(VALU_DEP_3) | instskip(SKIP_3) | instid1(VALU_DEP_2)
	v_add_f64 v[6:7], v[8:9], v[6:7]
	v_add_f64 v[8:9], v[156:157], v[182:183]
	v_mul_f64 v[156:157], v[14:15], s[18:19]
	v_mul_f64 v[182:183], v[194:195], s[18:19]
	v_fma_f64 v[158:159], v[8:9], s[14:15], -v[156:157]
	v_fma_f64 v[156:157], v[8:9], s[14:15], v[156:157]
	s_delay_alu instid0(VALU_DEP_2) | instskip(SKIP_1) | instid1(VALU_DEP_3)
	v_add_f64 v[18:19], v[158:159], v[18:19]
	v_mul_f64 v[158:159], v[12:13], s[18:19]
	v_add_f64 v[16:17], v[156:157], v[16:17]
	s_delay_alu instid0(VALU_DEP_2) | instskip(SKIP_1) | instid1(VALU_DEP_2)
	v_fma_f64 v[156:157], v[10:11], s[14:15], -v[158:159]
	v_fma_f64 v[178:179], v[10:11], s[14:15], v[158:159]
	v_add_f64 v[20:21], v[156:157], v[20:21]
	v_mul_f64 v[156:157], v[14:15], s[44:45]
	s_delay_alu instid0(VALU_DEP_3) | instskip(NEXT) | instid1(VALU_DEP_2)
	v_add_f64 v[22:23], v[178:179], v[22:23]
	v_fma_f64 v[158:159], v[8:9], s[24:25], -v[156:157]
	v_fma_f64 v[156:157], v[8:9], s[24:25], v[156:157]
	s_delay_alu instid0(VALU_DEP_2) | instskip(SKIP_1) | instid1(VALU_DEP_3)
	v_add_f64 v[26:27], v[158:159], v[26:27]
	v_mul_f64 v[158:159], v[12:13], s[44:45]
	v_add_f64 v[24:25], v[156:157], v[24:25]
	s_delay_alu instid0(VALU_DEP_2) | instskip(SKIP_1) | instid1(VALU_DEP_2)
	v_fma_f64 v[156:157], v[10:11], s[24:25], -v[158:159]
	v_fma_f64 v[178:179], v[10:11], s[24:25], v[158:159]
	v_add_f64 v[28:29], v[156:157], v[28:29]
	v_mul_f64 v[156:157], v[14:15], s[38:39]
	s_delay_alu instid0(VALU_DEP_3) | instskip(NEXT) | instid1(VALU_DEP_2)
	v_add_f64 v[30:31], v[178:179], v[30:31]
	;; [unrolled: 13-line block ×3, first 2 shown]
	v_fma_f64 v[158:159], v[8:9], s[2:3], -v[156:157]
	v_fma_f64 v[156:157], v[8:9], s[2:3], v[156:157]
	s_delay_alu instid0(VALU_DEP_2) | instskip(SKIP_1) | instid1(VALU_DEP_3)
	v_add_f64 v[42:43], v[158:159], v[42:43]
	v_mul_f64 v[158:159], v[12:13], s[40:41]
	v_add_f64 v[40:41], v[156:157], v[40:41]
	s_delay_alu instid0(VALU_DEP_2) | instskip(SKIP_1) | instid1(VALU_DEP_2)
	v_fma_f64 v[156:157], v[10:11], s[2:3], -v[158:159]
	v_fma_f64 v[178:179], v[10:11], s[2:3], v[158:159]
	v_add_f64 v[44:45], v[156:157], v[44:45]
	v_mul_f64 v[156:157], v[14:15], s[42:43]
	v_mul_f64 v[14:15], v[14:15], s[36:37]
	s_delay_alu instid0(VALU_DEP_4) | instskip(NEXT) | instid1(VALU_DEP_3)
	v_add_f64 v[46:47], v[178:179], v[46:47]
	v_fma_f64 v[158:159], v[8:9], s[28:29], -v[156:157]
	v_fma_f64 v[156:157], v[8:9], s[28:29], v[156:157]
	s_delay_alu instid0(VALU_DEP_2) | instskip(SKIP_1) | instid1(VALU_DEP_3)
	v_add_f64 v[50:51], v[158:159], v[50:51]
	v_mul_f64 v[158:159], v[12:13], s[42:43]
	v_add_f64 v[48:49], v[156:157], v[48:49]
	v_mul_f64 v[12:13], v[12:13], s[36:37]
	s_delay_alu instid0(VALU_DEP_3) | instskip(SKIP_1) | instid1(VALU_DEP_3)
	v_fma_f64 v[156:157], v[10:11], s[28:29], -v[158:159]
	v_fma_f64 v[178:179], v[10:11], s[28:29], v[158:159]
	v_fma_f64 v[158:159], v[10:11], s[16:17], v[12:13]
	s_delay_alu instid0(VALU_DEP_3)
	v_add_f64 v[52:53], v[156:157], v[52:53]
	v_fma_f64 v[156:157], v[8:9], s[16:17], -v[14:15]
	v_fma_f64 v[8:9], v[8:9], s[16:17], v[14:15]
	v_add_f64 v[14:15], v[166:167], -v[176:177]
	v_add_f64 v[54:55], v[178:179], v[54:55]
	v_add_f64 v[158:159], v[158:159], v[172:173]
	;; [unrolled: 1-line block ×3, first 2 shown]
	v_add_f64 v[154:155], v[154:155], -v[162:163]
	v_add_f64 v[156:157], v[156:157], v[170:171]
	v_add_f64 v[4:5], v[8:9], v[4:5]
	v_fma_f64 v[8:9], v[10:11], s[16:17], -v[12:13]
	v_add_f64 v[12:13], v[164:165], -v[174:175]
	v_add_f64 v[10:11], v[166:167], v[176:177]
	v_add_f64 v[176:177], v[152:153], v[160:161]
	v_add_f64 v[152:153], v[152:153], -v[160:161]
	v_add_f64 v[160:161], v[168:169], -v[186:187]
	v_add_f64 v[6:7], v[8:9], v[6:7]
	v_add_f64 v[8:9], v[164:165], v[174:175]
	v_mul_f64 v[164:165], v[14:15], s[26:27]
	s_delay_alu instid0(VALU_DEP_4) | instskip(SKIP_2) | instid1(VALU_DEP_4)
	v_mul_f64 v[184:185], v[160:161], s[18:19]
	v_mul_f64 v[192:193], v[160:161], s[26:27]
	;; [unrolled: 1-line block ×3, first 2 shown]
	v_fma_f64 v[166:167], v[8:9], s[24:25], -v[164:165]
	v_fma_f64 v[164:165], v[8:9], s[24:25], v[164:165]
	s_delay_alu instid0(VALU_DEP_2) | instskip(SKIP_1) | instid1(VALU_DEP_3)
	v_add_f64 v[18:19], v[166:167], v[18:19]
	v_mul_f64 v[166:167], v[12:13], s[26:27]
	v_add_f64 v[16:17], v[164:165], v[16:17]
	s_delay_alu instid0(VALU_DEP_2) | instskip(SKIP_1) | instid1(VALU_DEP_2)
	v_fma_f64 v[164:165], v[10:11], s[24:25], -v[166:167]
	v_fma_f64 v[170:171], v[10:11], s[24:25], v[166:167]
	v_add_f64 v[164:165], v[164:165], v[20:21]
	v_mul_f64 v[20:21], v[14:15], s[20:21]
	s_delay_alu instid0(VALU_DEP_3) | instskip(NEXT) | instid1(VALU_DEP_2)
	v_add_f64 v[22:23], v[170:171], v[22:23]
	v_fma_f64 v[166:167], v[8:9], s[2:3], -v[20:21]
	v_fma_f64 v[20:21], v[8:9], s[2:3], v[20:21]
	s_delay_alu instid0(VALU_DEP_2) | instskip(SKIP_1) | instid1(VALU_DEP_1)
	v_add_f64 v[26:27], v[166:167], v[26:27]
	v_mul_f64 v[166:167], v[12:13], s[20:21]
	v_fma_f64 v[170:171], v[10:11], s[2:3], v[166:167]
	s_delay_alu instid0(VALU_DEP_1) | instskip(SKIP_2) | instid1(VALU_DEP_1)
	v_add_f64 v[30:31], v[170:171], v[30:31]
	v_add_f64 v[170:171], v[20:21], v[24:25]
	v_fma_f64 v[20:21], v[10:11], s[2:3], -v[166:167]
	v_add_f64 v[28:29], v[20:21], v[28:29]
	v_mul_f64 v[20:21], v[14:15], s[34:35]
	s_delay_alu instid0(VALU_DEP_1) | instskip(SKIP_1) | instid1(VALU_DEP_2)
	v_fma_f64 v[24:25], v[8:9], s[16:17], -v[20:21]
	v_fma_f64 v[20:21], v[8:9], s[16:17], v[20:21]
	v_add_f64 v[34:35], v[24:25], v[34:35]
	v_mul_f64 v[24:25], v[12:13], s[34:35]
	s_delay_alu instid0(VALU_DEP_1) | instskip(NEXT) | instid1(VALU_DEP_1)
	v_fma_f64 v[166:167], v[10:11], s[16:17], v[24:25]
	v_add_f64 v[38:39], v[166:167], v[38:39]
	v_add_f64 v[166:167], v[20:21], v[32:33]
	v_fma_f64 v[20:21], v[10:11], s[16:17], -v[24:25]
	s_delay_alu instid0(VALU_DEP_1) | instskip(SKIP_1) | instid1(VALU_DEP_1)
	v_add_f64 v[36:37], v[20:21], v[36:37]
	v_mul_f64 v[20:21], v[14:15], s[42:43]
	v_fma_f64 v[24:25], v[8:9], s[28:29], -v[20:21]
	v_fma_f64 v[20:21], v[8:9], s[28:29], v[20:21]
	s_delay_alu instid0(VALU_DEP_2) | instskip(SKIP_1) | instid1(VALU_DEP_3)
	v_add_f64 v[42:43], v[24:25], v[42:43]
	v_mul_f64 v[24:25], v[12:13], s[42:43]
	v_add_f64 v[40:41], v[20:21], v[40:41]
	s_delay_alu instid0(VALU_DEP_2) | instskip(SKIP_1) | instid1(VALU_DEP_2)
	v_fma_f64 v[20:21], v[10:11], s[28:29], -v[24:25]
	v_fma_f64 v[32:33], v[10:11], s[28:29], v[24:25]
	v_add_f64 v[44:45], v[20:21], v[44:45]
	v_mul_f64 v[20:21], v[14:15], s[38:39]
	v_mul_f64 v[14:15], v[14:15], s[18:19]
	s_delay_alu instid0(VALU_DEP_4) | instskip(NEXT) | instid1(VALU_DEP_3)
	v_add_f64 v[46:47], v[32:33], v[46:47]
	v_fma_f64 v[24:25], v[8:9], s[22:23], -v[20:21]
	v_fma_f64 v[20:21], v[8:9], s[22:23], v[20:21]
	s_delay_alu instid0(VALU_DEP_2) | instskip(SKIP_1) | instid1(VALU_DEP_3)
	v_add_f64 v[50:51], v[24:25], v[50:51]
	v_mul_f64 v[24:25], v[12:13], s[38:39]
	v_add_f64 v[48:49], v[20:21], v[48:49]
	v_mul_f64 v[12:13], v[12:13], s[18:19]
	s_delay_alu instid0(VALU_DEP_3) | instskip(SKIP_1) | instid1(VALU_DEP_2)
	v_fma_f64 v[20:21], v[10:11], s[22:23], -v[24:25]
	v_fma_f64 v[32:33], v[10:11], s[22:23], v[24:25]
	v_add_f64 v[52:53], v[20:21], v[52:53]
	v_fma_f64 v[20:21], v[8:9], s[14:15], -v[14:15]
	v_fma_f64 v[8:9], v[8:9], s[14:15], v[14:15]
	s_delay_alu instid0(VALU_DEP_4) | instskip(NEXT) | instid1(VALU_DEP_3)
	v_add_f64 v[54:55], v[32:33], v[54:55]
	v_add_f64 v[156:157], v[20:21], v[156:157]
	s_delay_alu instid0(VALU_DEP_3) | instskip(SKIP_2) | instid1(VALU_DEP_2)
	v_add_f64 v[172:173], v[8:9], v[4:5]
	v_fma_f64 v[4:5], v[10:11], s[14:15], -v[12:13]
	v_fma_f64 v[20:21], v[10:11], s[14:15], v[12:13]
	v_add_f64 v[174:175], v[4:5], v[6:7]
	v_mul_f64 v[4:5], v[154:155], s[30:31]
	s_delay_alu instid0(VALU_DEP_3) | instskip(NEXT) | instid1(VALU_DEP_2)
	v_add_f64 v[158:159], v[20:21], v[158:159]
	v_fma_f64 v[6:7], v[176:177], s[28:29], -v[4:5]
	v_fma_f64 v[4:5], v[176:177], s[28:29], v[4:5]
	s_delay_alu instid0(VALU_DEP_2) | instskip(SKIP_1) | instid1(VALU_DEP_3)
	v_add_f64 v[20:21], v[6:7], v[18:19]
	v_mul_f64 v[6:7], v[152:153], s[30:31]
	v_add_f64 v[4:5], v[4:5], v[16:17]
	s_delay_alu instid0(VALU_DEP_2) | instskip(SKIP_1) | instid1(VALU_DEP_2)
	v_fma_f64 v[8:9], v[178:179], s[28:29], v[6:7]
	v_fma_f64 v[6:7], v[178:179], s[28:29], -v[6:7]
	v_add_f64 v[22:23], v[8:9], v[22:23]
	v_mul_f64 v[8:9], v[154:155], s[38:39]
	s_delay_alu instid0(VALU_DEP_3) | instskip(NEXT) | instid1(VALU_DEP_2)
	v_add_f64 v[6:7], v[6:7], v[164:165]
	v_fma_f64 v[10:11], v[176:177], s[22:23], -v[8:9]
	v_fma_f64 v[8:9], v[176:177], s[22:23], v[8:9]
	s_delay_alu instid0(VALU_DEP_2) | instskip(SKIP_1) | instid1(VALU_DEP_3)
	v_add_f64 v[24:25], v[10:11], v[26:27]
	v_mul_f64 v[10:11], v[152:153], s[38:39]
	v_add_f64 v[8:9], v[8:9], v[170:171]
	s_delay_alu instid0(VALU_DEP_2) | instskip(SKIP_1) | instid1(VALU_DEP_2)
	v_fma_f64 v[12:13], v[178:179], s[22:23], v[10:11]
	v_fma_f64 v[10:11], v[178:179], s[22:23], -v[10:11]
	v_add_f64 v[26:27], v[12:13], v[30:31]
	v_mul_f64 v[12:13], v[154:155], s[26:27]
	s_delay_alu instid0(VALU_DEP_3) | instskip(NEXT) | instid1(VALU_DEP_2)
	v_add_f64 v[10:11], v[10:11], v[28:29]
	v_fma_f64 v[14:15], v[176:177], s[24:25], -v[12:13]
	v_fma_f64 v[12:13], v[176:177], s[24:25], v[12:13]
	s_delay_alu instid0(VALU_DEP_2) | instskip(SKIP_1) | instid1(VALU_DEP_3)
	v_add_f64 v[32:33], v[14:15], v[34:35]
	v_mul_f64 v[14:15], v[152:153], s[26:27]
	v_add_f64 v[12:13], v[12:13], v[166:167]
	v_mul_f64 v[166:167], v[194:195], s[34:35]
	s_delay_alu instid0(VALU_DEP_3) | instskip(SKIP_1) | instid1(VALU_DEP_2)
	v_fma_f64 v[16:17], v[178:179], s[24:25], v[14:15]
	v_fma_f64 v[14:15], v[178:179], s[24:25], -v[14:15]
	v_add_f64 v[34:35], v[16:17], v[38:39]
	v_mul_f64 v[16:17], v[154:155], s[36:37]
	s_delay_alu instid0(VALU_DEP_3) | instskip(NEXT) | instid1(VALU_DEP_2)
	v_add_f64 v[14:15], v[14:15], v[36:37]
	v_fma_f64 v[18:19], v[176:177], s[16:17], -v[16:17]
	v_fma_f64 v[16:17], v[176:177], s[16:17], v[16:17]
	s_delay_alu instid0(VALU_DEP_2) | instskip(SKIP_1) | instid1(VALU_DEP_3)
	v_add_f64 v[36:37], v[18:19], v[42:43]
	v_mul_f64 v[18:19], v[152:153], s[36:37]
	v_add_f64 v[16:17], v[16:17], v[40:41]
	s_delay_alu instid0(VALU_DEP_2) | instskip(SKIP_1) | instid1(VALU_DEP_2)
	v_fma_f64 v[28:29], v[178:179], s[16:17], v[18:19]
	v_fma_f64 v[18:19], v[178:179], s[16:17], -v[18:19]
	v_add_f64 v[38:39], v[28:29], v[46:47]
	v_mul_f64 v[28:29], v[154:155], s[18:19]
	s_delay_alu instid0(VALU_DEP_3) | instskip(NEXT) | instid1(VALU_DEP_2)
	v_add_f64 v[18:19], v[18:19], v[44:45]
	v_fma_f64 v[30:31], v[176:177], s[14:15], -v[28:29]
	v_fma_f64 v[28:29], v[176:177], s[14:15], v[28:29]
	s_delay_alu instid0(VALU_DEP_2) | instskip(SKIP_1) | instid1(VALU_DEP_3)
	v_add_f64 v[44:45], v[30:31], v[50:51]
	v_mul_f64 v[30:31], v[152:153], s[18:19]
	v_add_f64 v[28:29], v[28:29], v[48:49]
	s_delay_alu instid0(VALU_DEP_2) | instskip(SKIP_1) | instid1(VALU_DEP_2)
	v_fma_f64 v[40:41], v[178:179], s[14:15], v[30:31]
	v_fma_f64 v[30:31], v[178:179], s[14:15], -v[30:31]
	v_add_f64 v[46:47], v[40:41], v[54:55]
	v_mul_f64 v[40:41], v[154:155], s[20:21]
	s_delay_alu instid0(VALU_DEP_3) | instskip(SKIP_1) | instid1(VALU_DEP_3)
	v_add_f64 v[30:31], v[30:31], v[52:53]
	v_mul_f64 v[154:155], v[160:161], s[48:49]
	v_fma_f64 v[42:43], v[176:177], s[2:3], -v[40:41]
	v_fma_f64 v[40:41], v[176:177], s[2:3], v[40:41]
	v_mul_f64 v[176:177], v[160:161], s[40:41]
	s_delay_alu instid0(VALU_DEP_3) | instskip(SKIP_3) | instid1(VALU_DEP_3)
	v_add_f64 v[52:53], v[42:43], v[156:157]
	v_mul_f64 v[42:43], v[152:153], s[20:21]
	v_add_f64 v[156:157], v[168:169], v[186:187]
	v_add_f64 v[152:153], v[100:101], v[102:103]
	v_fma_f64 v[48:49], v[178:179], s[2:3], v[42:43]
	s_delay_alu instid0(VALU_DEP_3) | instskip(NEXT) | instid1(VALU_DEP_3)
	v_fma_f64 v[162:163], v[156:157], s[16:17], -v[166:167]
	v_fma_f64 v[180:181], v[152:153], s[14:15], v[184:185]
	v_fma_f64 v[184:185], v[152:153], s[14:15], -v[184:185]
	v_fma_f64 v[188:189], v[152:153], s[24:25], v[192:193]
	;; [unrolled: 2-line block ×3, first 2 shown]
	v_add_f64 v[54:55], v[48:49], v[158:159]
	v_add_f64 v[48:49], v[40:41], v[172:173]
	v_fma_f64 v[40:41], v[178:179], s[2:3], -v[42:43]
	v_add_f64 v[42:43], v[58:59], v[100:101]
	v_fma_f64 v[172:173], v[152:153], s[2:3], v[176:177]
	v_fma_f64 v[176:177], v[152:153], s[2:3], -v[176:177]
	v_fma_f64 v[178:179], v[156:157], s[14:15], -v[182:183]
	v_add_f64 v[180:181], v[58:59], v[180:181]
	v_fma_f64 v[182:183], v[156:157], s[14:15], v[182:183]
	v_add_f64 v[184:185], v[58:59], v[184:185]
	v_add_f64 v[188:189], v[58:59], v[188:189]
	;; [unrolled: 1-line block ×8, first 2 shown]
	v_mul_f64 v[168:169], v[160:161], s[34:35]
	v_mul_f64 v[174:175], v[194:195], s[40:41]
	v_fma_f64 v[160:161], v[152:153], s[28:29], v[203:204]
	v_add_f64 v[172:173], v[58:59], v[172:173]
	v_add_f64 v[176:177], v[58:59], v[176:177]
	;; [unrolled: 1-line block ×6, first 2 shown]
	v_fma_f64 v[164:165], v[152:153], s[16:17], v[168:169]
	v_fma_f64 v[168:169], v[152:153], s[16:17], -v[168:169]
	v_fma_f64 v[170:171], v[156:157], s[2:3], -v[174:175]
	v_fma_f64 v[174:175], v[156:157], s[2:3], v[174:175]
	v_add_f64 v[160:161], v[58:59], v[160:161]
	v_add_f64 v[42:43], v[42:43], v[76:77]
	;; [unrolled: 1-line block ×9, first 2 shown]
	s_delay_alu instid0(VALU_DEP_2) | instskip(NEXT) | instid1(VALU_DEP_2)
	v_add_f64 v[42:43], v[42:43], v[60:61]
	v_add_f64 v[40:41], v[40:41], v[72:73]
	s_delay_alu instid0(VALU_DEP_2) | instskip(NEXT) | instid1(VALU_DEP_2)
	v_add_f64 v[42:43], v[42:43], v[62:63]
	v_add_f64 v[40:41], v[40:41], v[64:65]
	s_delay_alu instid0(VALU_DEP_2) | instskip(NEXT) | instid1(VALU_DEP_2)
	v_add_f64 v[42:43], v[42:43], v[70:71]
	v_add_f64 v[40:41], v[40:41], v[66:67]
	s_delay_alu instid0(VALU_DEP_2) | instskip(NEXT) | instid1(VALU_DEP_2)
	v_add_f64 v[42:43], v[42:43], v[80:81]
	v_add_f64 v[40:41], v[40:41], v[74:75]
	s_delay_alu instid0(VALU_DEP_2) | instskip(NEXT) | instid1(VALU_DEP_2)
	v_add_f64 v[42:43], v[42:43], v[88:89]
	v_add_f64 v[40:41], v[40:41], v[84:85]
	s_delay_alu instid0(VALU_DEP_2) | instskip(NEXT) | instid1(VALU_DEP_2)
	v_add_f64 v[42:43], v[42:43], v[94:95]
	v_add_f64 v[40:41], v[40:41], v[92:93]
	s_delay_alu instid0(VALU_DEP_2) | instskip(SKIP_1) | instid1(VALU_DEP_3)
	v_add_f64 v[42:43], v[42:43], v[102:103]
	v_mul_f64 v[102:103], v[194:195], s[48:49]
	v_add_f64 v[40:41], v[40:41], v[98:99]
	v_fma_f64 v[194:195], v[156:157], s[28:29], -v[196:197]
	s_delay_alu instid0(VALU_DEP_3) | instskip(NEXT) | instid1(VALU_DEP_3)
	v_fma_f64 v[100:101], v[156:157], s[22:23], -v[102:103]
	v_add_f64 v[40:41], v[40:41], v[186:187]
	v_fma_f64 v[102:103], v[156:157], s[22:23], v[102:103]
	v_fma_f64 v[186:187], v[156:157], s[24:25], -v[190:191]
	v_fma_f64 v[190:191], v[156:157], s[24:25], v[190:191]
	v_fma_f64 v[156:157], v[156:157], s[28:29], v[196:197]
	v_add_f64 v[194:195], v[56:57], v[194:195]
	v_add_f64 v[158:159], v[56:57], v[100:101]
	v_fma_f64 v[100:101], v[152:153], s[22:23], v[154:155]
	v_fma_f64 v[154:155], v[152:153], s[22:23], -v[154:155]
	v_fma_f64 v[152:153], v[152:153], s[28:29], -v[203:204]
	v_add_f64 v[102:103], v[56:57], v[102:103]
	v_add_f64 v[186:187], v[56:57], v[186:187]
	;; [unrolled: 1-line block ×5, first 2 shown]
	v_add_f64 v[96:97], v[96:97], -v[98:99]
	v_add_f64 v[100:101], v[58:59], v[100:101]
	v_add_f64 v[154:155], v[58:59], v[154:155]
	;; [unrolled: 1-line block ×4, first 2 shown]
	v_add_f64 v[90:91], v[90:91], -v[94:95]
	s_delay_alu instid0(VALU_DEP_1) | instskip(NEXT) | instid1(VALU_DEP_1)
	v_mul_f64 v[94:95], v[90:91], s[34:35]
	v_fma_f64 v[98:99], v[156:157], s[16:17], -v[94:95]
	v_fma_f64 v[94:95], v[156:157], s[16:17], v[94:95]
	s_delay_alu instid0(VALU_DEP_2) | instskip(SKIP_1) | instid1(VALU_DEP_3)
	v_add_f64 v[98:99], v[98:99], v[158:159]
	v_mul_f64 v[158:159], v[96:97], s[34:35]
	v_add_f64 v[94:95], v[94:95], v[102:103]
	s_delay_alu instid0(VALU_DEP_2) | instskip(SKIP_1) | instid1(VALU_DEP_2)
	v_fma_f64 v[102:103], v[152:153], s[16:17], -v[158:159]
	v_fma_f64 v[196:197], v[152:153], s[16:17], v[158:159]
	v_add_f64 v[102:103], v[102:103], v[154:155]
	v_mul_f64 v[154:155], v[90:91], s[18:19]
	s_delay_alu instid0(VALU_DEP_3) | instskip(NEXT) | instid1(VALU_DEP_2)
	v_add_f64 v[100:101], v[196:197], v[100:101]
	v_fma_f64 v[158:159], v[156:157], s[14:15], -v[154:155]
	v_fma_f64 v[154:155], v[156:157], s[14:15], v[154:155]
	s_delay_alu instid0(VALU_DEP_2) | instskip(SKIP_1) | instid1(VALU_DEP_3)
	v_add_f64 v[158:159], v[158:159], v[162:163]
	v_mul_f64 v[162:163], v[96:97], s[18:19]
	v_add_f64 v[154:155], v[154:155], v[166:167]
	v_mul_f64 v[166:167], v[90:91], s[30:31]
	s_delay_alu instid0(VALU_DEP_3) | instskip(SKIP_1) | instid1(VALU_DEP_2)
	v_fma_f64 v[196:197], v[152:153], s[14:15], v[162:163]
	v_fma_f64 v[162:163], v[152:153], s[14:15], -v[162:163]
	v_add_f64 v[164:165], v[196:197], v[164:165]
	s_delay_alu instid0(VALU_DEP_2) | instskip(SKIP_2) | instid1(VALU_DEP_2)
	v_add_f64 v[162:163], v[162:163], v[168:169]
	v_fma_f64 v[168:169], v[156:157], s[28:29], -v[166:167]
	v_fma_f64 v[166:167], v[156:157], s[28:29], v[166:167]
	v_add_f64 v[168:169], v[168:169], v[170:171]
	v_mul_f64 v[170:171], v[96:97], s[30:31]
	s_delay_alu instid0(VALU_DEP_3) | instskip(SKIP_1) | instid1(VALU_DEP_3)
	v_add_f64 v[166:167], v[166:167], v[174:175]
	v_mul_f64 v[174:175], v[90:91], s[44:45]
	v_fma_f64 v[196:197], v[152:153], s[28:29], v[170:171]
	v_fma_f64 v[170:171], v[152:153], s[28:29], -v[170:171]
	s_delay_alu instid0(VALU_DEP_2) | instskip(NEXT) | instid1(VALU_DEP_2)
	v_add_f64 v[172:173], v[196:197], v[172:173]
	v_add_f64 v[170:171], v[170:171], v[176:177]
	v_fma_f64 v[176:177], v[156:157], s[24:25], -v[174:175]
	v_fma_f64 v[174:175], v[156:157], s[24:25], v[174:175]
	s_delay_alu instid0(VALU_DEP_2) | instskip(SKIP_1) | instid1(VALU_DEP_3)
	v_add_f64 v[176:177], v[176:177], v[178:179]
	v_mul_f64 v[178:179], v[96:97], s[44:45]
	v_add_f64 v[174:175], v[174:175], v[182:183]
	v_mul_f64 v[182:183], v[90:91], s[20:21]
	v_mul_f64 v[90:91], v[90:91], s[38:39]
	s_delay_alu instid0(VALU_DEP_4) | instskip(SKIP_1) | instid1(VALU_DEP_2)
	v_fma_f64 v[196:197], v[152:153], s[24:25], v[178:179]
	v_fma_f64 v[178:179], v[152:153], s[24:25], -v[178:179]
	v_add_f64 v[180:181], v[196:197], v[180:181]
	s_delay_alu instid0(VALU_DEP_2) | instskip(SKIP_2) | instid1(VALU_DEP_2)
	v_add_f64 v[178:179], v[178:179], v[184:185]
	v_fma_f64 v[184:185], v[156:157], s[2:3], -v[182:183]
	v_fma_f64 v[182:183], v[156:157], s[2:3], v[182:183]
	v_add_f64 v[184:185], v[184:185], v[186:187]
	v_mul_f64 v[186:187], v[96:97], s[20:21]
	s_delay_alu instid0(VALU_DEP_3)
	v_add_f64 v[182:183], v[182:183], v[190:191]
	v_fma_f64 v[190:191], v[156:157], s[22:23], -v[90:91]
	v_mul_f64 v[96:97], v[96:97], s[38:39]
	v_fma_f64 v[90:91], v[156:157], s[22:23], v[90:91]
	v_fma_f64 v[196:197], v[152:153], s[2:3], v[186:187]
	v_fma_f64 v[186:187], v[152:153], s[2:3], -v[186:187]
	v_add_f64 v[190:191], v[190:191], v[194:195]
	s_delay_alu instid0(VALU_DEP_4)
	v_add_f64 v[56:57], v[90:91], v[56:57]
	v_fma_f64 v[90:91], v[152:153], s[22:23], -v[96:97]
	v_add_f64 v[188:189], v[196:197], v[188:189]
	v_add_f64 v[186:187], v[186:187], v[192:193]
	v_fma_f64 v[192:193], v[152:153], s[22:23], v[96:97]
	v_add_f64 v[96:97], v[82:83], v[88:89]
	v_add_f64 v[82:83], v[82:83], -v[88:89]
	v_add_f64 v[58:59], v[90:91], v[58:59]
	v_add_f64 v[90:91], v[86:87], v[92:93]
	v_add_f64 v[86:87], v[86:87], -v[92:93]
	v_add_f64 v[160:161], v[192:193], v[160:161]
	v_mul_f64 v[88:89], v[82:83], s[40:41]
	s_delay_alu instid0(VALU_DEP_1) | instskip(SKIP_1) | instid1(VALU_DEP_2)
	v_fma_f64 v[92:93], v[90:91], s[2:3], -v[88:89]
	v_fma_f64 v[88:89], v[90:91], s[2:3], v[88:89]
	v_add_f64 v[92:93], v[92:93], v[98:99]
	v_mul_f64 v[98:99], v[86:87], s[40:41]
	s_delay_alu instid0(VALU_DEP_3) | instskip(NEXT) | instid1(VALU_DEP_2)
	v_add_f64 v[88:89], v[88:89], v[94:95]
	v_fma_f64 v[152:153], v[96:97], s[2:3], v[98:99]
	v_fma_f64 v[94:95], v[96:97], s[2:3], -v[98:99]
	v_mul_f64 v[98:99], v[82:83], s[30:31]
	s_delay_alu instid0(VALU_DEP_3) | instskip(NEXT) | instid1(VALU_DEP_3)
	v_add_f64 v[100:101], v[152:153], v[100:101]
	v_add_f64 v[94:95], v[94:95], v[102:103]
	s_delay_alu instid0(VALU_DEP_3) | instskip(SKIP_2) | instid1(VALU_DEP_3)
	v_fma_f64 v[102:103], v[90:91], s[28:29], -v[98:99]
	v_fma_f64 v[98:99], v[90:91], s[28:29], v[98:99]
	v_mul_f64 v[152:153], v[86:87], s[30:31]
	v_add_f64 v[102:103], v[102:103], v[158:159]
	s_delay_alu instid0(VALU_DEP_3) | instskip(SKIP_1) | instid1(VALU_DEP_4)
	v_add_f64 v[98:99], v[98:99], v[154:155]
	v_mul_f64 v[154:155], v[82:83], s[46:47]
	v_fma_f64 v[156:157], v[96:97], s[28:29], v[152:153]
	v_fma_f64 v[152:153], v[96:97], s[28:29], -v[152:153]
	s_delay_alu instid0(VALU_DEP_3) | instskip(SKIP_1) | instid1(VALU_DEP_3)
	v_fma_f64 v[158:159], v[90:91], s[14:15], -v[154:155]
	v_fma_f64 v[154:155], v[90:91], s[14:15], v[154:155]
	v_add_f64 v[152:153], v[152:153], v[162:163]
	v_mul_f64 v[162:163], v[86:87], s[46:47]
	v_add_f64 v[156:157], v[156:157], v[164:165]
	v_add_f64 v[158:159], v[158:159], v[168:169]
	;; [unrolled: 1-line block ×3, first 2 shown]
	v_mul_f64 v[166:167], v[82:83], s[38:39]
	v_fma_f64 v[164:165], v[96:97], s[14:15], v[162:163]
	v_fma_f64 v[162:163], v[96:97], s[14:15], -v[162:163]
	s_delay_alu instid0(VALU_DEP_3) | instskip(SKIP_1) | instid1(VALU_DEP_3)
	v_fma_f64 v[168:169], v[90:91], s[22:23], -v[166:167]
	v_fma_f64 v[166:167], v[90:91], s[22:23], v[166:167]
	v_add_f64 v[162:163], v[162:163], v[170:171]
	v_mul_f64 v[170:171], v[86:87], s[38:39]
	v_add_f64 v[164:165], v[164:165], v[172:173]
	v_add_f64 v[168:169], v[168:169], v[176:177]
	;; [unrolled: 1-line block ×3, first 2 shown]
	v_mul_f64 v[174:175], v[82:83], s[34:35]
	v_fma_f64 v[172:173], v[96:97], s[22:23], v[170:171]
	v_fma_f64 v[170:171], v[96:97], s[22:23], -v[170:171]
	v_mul_f64 v[82:83], v[82:83], s[26:27]
	s_delay_alu instid0(VALU_DEP_4) | instskip(SKIP_1) | instid1(VALU_DEP_4)
	v_fma_f64 v[176:177], v[90:91], s[16:17], -v[174:175]
	v_fma_f64 v[174:175], v[90:91], s[16:17], v[174:175]
	v_add_f64 v[170:171], v[170:171], v[178:179]
	v_mul_f64 v[178:179], v[86:87], s[34:35]
	v_mul_f64 v[86:87], v[86:87], s[26:27]
	v_add_f64 v[172:173], v[172:173], v[180:181]
	v_add_f64 v[176:177], v[176:177], v[184:185]
	;; [unrolled: 1-line block ×3, first 2 shown]
	v_fma_f64 v[182:183], v[90:91], s[24:25], -v[82:83]
	v_fma_f64 v[82:83], v[90:91], s[24:25], v[82:83]
	v_fma_f64 v[184:185], v[96:97], s[24:25], v[86:87]
	;; [unrolled: 1-line block ×3, first 2 shown]
	v_fma_f64 v[178:179], v[96:97], s[16:17], -v[178:179]
	v_add_f64 v[182:183], v[182:183], v[190:191]
	v_add_f64 v[56:57], v[82:83], v[56:57]
	v_fma_f64 v[82:83], v[96:97], s[24:25], -v[86:87]
	v_add_f64 v[86:87], v[76:77], v[80:81]
	v_add_f64 v[76:77], v[76:77], -v[80:81]
	v_add_f64 v[178:179], v[178:179], v[186:187]
	v_add_f64 v[180:181], v[180:181], v[188:189]
	;; [unrolled: 1-line block ×5, first 2 shown]
	v_add_f64 v[78:79], v[78:79], -v[84:85]
	v_mul_f64 v[80:81], v[76:77], s[18:19]
	s_delay_alu instid0(VALU_DEP_2) | instskip(NEXT) | instid1(VALU_DEP_2)
	v_mul_f64 v[90:91], v[78:79], s[18:19]
	v_fma_f64 v[84:85], v[82:83], s[14:15], -v[80:81]
	v_fma_f64 v[80:81], v[82:83], s[14:15], v[80:81]
	v_mul_f64 v[96:97], v[78:79], s[44:45]
	s_delay_alu instid0(VALU_DEP_3) | instskip(SKIP_1) | instid1(VALU_DEP_4)
	v_add_f64 v[84:85], v[84:85], v[92:93]
	v_fma_f64 v[92:93], v[86:87], s[14:15], v[90:91]
	v_add_f64 v[80:81], v[80:81], v[88:89]
	v_fma_f64 v[88:89], v[86:87], s[14:15], -v[90:91]
	v_mul_f64 v[90:91], v[76:77], s[44:45]
	s_delay_alu instid0(VALU_DEP_4) | instskip(SKIP_1) | instid1(VALU_DEP_4)
	v_add_f64 v[92:93], v[92:93], v[100:101]
	v_fma_f64 v[100:101], v[86:87], s[24:25], v[96:97]
	v_add_f64 v[88:89], v[88:89], v[94:95]
	s_delay_alu instid0(VALU_DEP_4) | instskip(SKIP_3) | instid1(VALU_DEP_4)
	v_fma_f64 v[94:95], v[82:83], s[24:25], -v[90:91]
	v_fma_f64 v[90:91], v[82:83], s[24:25], v[90:91]
	v_fma_f64 v[96:97], v[86:87], s[24:25], -v[96:97]
	v_add_f64 v[100:101], v[100:101], v[156:157]
	v_add_f64 v[94:95], v[94:95], v[102:103]
	s_delay_alu instid0(VALU_DEP_4) | instskip(SKIP_3) | instid1(VALU_DEP_3)
	v_add_f64 v[90:91], v[90:91], v[98:99]
	v_mul_f64 v[98:99], v[76:77], s[38:39]
	v_add_f64 v[96:97], v[96:97], v[152:153]
	v_mul_f64 v[152:153], v[78:79], s[38:39]
	v_fma_f64 v[102:103], v[82:83], s[22:23], -v[98:99]
	v_fma_f64 v[98:99], v[82:83], s[22:23], v[98:99]
	s_delay_alu instid0(VALU_DEP_3) | instskip(SKIP_1) | instid1(VALU_DEP_4)
	v_fma_f64 v[156:157], v[86:87], s[22:23], v[152:153]
	v_fma_f64 v[152:153], v[86:87], s[22:23], -v[152:153]
	v_add_f64 v[102:103], v[102:103], v[158:159]
	s_delay_alu instid0(VALU_DEP_4) | instskip(SKIP_1) | instid1(VALU_DEP_4)
	v_add_f64 v[98:99], v[98:99], v[154:155]
	v_mul_f64 v[154:155], v[76:77], s[40:41]
	v_add_f64 v[152:153], v[152:153], v[162:163]
	v_mul_f64 v[162:163], v[78:79], s[40:41]
	v_add_f64 v[156:157], v[156:157], v[164:165]
	s_delay_alu instid0(VALU_DEP_4) | instskip(SKIP_1) | instid1(VALU_DEP_4)
	v_fma_f64 v[158:159], v[82:83], s[2:3], -v[154:155]
	v_fma_f64 v[154:155], v[82:83], s[2:3], v[154:155]
	v_fma_f64 v[164:165], v[86:87], s[2:3], v[162:163]
	v_fma_f64 v[162:163], v[86:87], s[2:3], -v[162:163]
	s_delay_alu instid0(VALU_DEP_4) | instskip(NEXT) | instid1(VALU_DEP_4)
	v_add_f64 v[158:159], v[158:159], v[168:169]
	v_add_f64 v[154:155], v[154:155], v[166:167]
	v_mul_f64 v[166:167], v[76:77], s[42:43]
	v_mul_f64 v[76:77], v[76:77], s[36:37]
	v_add_f64 v[162:163], v[162:163], v[170:171]
	v_mul_f64 v[170:171], v[78:79], s[42:43]
	v_mul_f64 v[78:79], v[78:79], s[36:37]
	v_add_f64 v[164:165], v[164:165], v[172:173]
	v_fma_f64 v[168:169], v[82:83], s[28:29], -v[166:167]
	v_fma_f64 v[166:167], v[82:83], s[28:29], v[166:167]
	v_fma_f64 v[172:173], v[86:87], s[28:29], v[170:171]
	v_fma_f64 v[170:171], v[86:87], s[28:29], -v[170:171]
	s_delay_alu instid0(VALU_DEP_4) | instskip(NEXT) | instid1(VALU_DEP_4)
	v_add_f64 v[168:169], v[168:169], v[176:177]
	v_add_f64 v[166:167], v[166:167], v[174:175]
	v_fma_f64 v[174:175], v[82:83], s[16:17], -v[76:77]
	v_fma_f64 v[76:77], v[82:83], s[16:17], v[76:77]
	v_fma_f64 v[176:177], v[86:87], s[16:17], v[78:79]
	v_add_f64 v[170:171], v[170:171], v[178:179]
	v_add_f64 v[172:173], v[172:173], v[180:181]
	;; [unrolled: 1-line block ×4, first 2 shown]
	v_fma_f64 v[76:77], v[86:87], s[16:17], -v[78:79]
	v_add_f64 v[78:79], v[68:69], v[70:71]
	v_add_f64 v[68:69], v[68:69], -v[70:71]
	v_add_f64 v[160:161], v[176:177], v[160:161]
	v_add_f64 v[86:87], v[64:65], v[66:67]
	;; [unrolled: 1-line block ×4, first 2 shown]
	v_mul_f64 v[70:71], v[68:69], s[26:27]
	v_add_f64 v[72:73], v[72:73], -v[74:75]
	s_delay_alu instid0(VALU_DEP_2) | instskip(SKIP_1) | instid1(VALU_DEP_2)
	v_fma_f64 v[74:75], v[76:77], s[24:25], -v[70:71]
	v_fma_f64 v[70:71], v[76:77], s[24:25], v[70:71]
	v_add_f64 v[82:83], v[74:75], v[84:85]
	s_delay_alu instid0(VALU_DEP_4) | instskip(NEXT) | instid1(VALU_DEP_3)
	v_mul_f64 v[74:75], v[72:73], s[26:27]
	v_add_f64 v[70:71], v[70:71], v[80:81]
	s_delay_alu instid0(VALU_DEP_2) | instskip(SKIP_1) | instid1(VALU_DEP_2)
	v_fma_f64 v[84:85], v[78:79], s[24:25], v[74:75]
	v_fma_f64 v[74:75], v[78:79], s[24:25], -v[74:75]
	v_add_f64 v[176:177], v[84:85], v[92:93]
	s_delay_alu instid0(VALU_DEP_2) | instskip(SKIP_2) | instid1(VALU_DEP_2)
	v_add_f64 v[178:179], v[74:75], v[88:89]
	v_mul_f64 v[74:75], v[68:69], s[20:21]
	v_add_f64 v[92:93], v[64:65], -v[66:67]
	v_fma_f64 v[80:81], v[76:77], s[2:3], -v[74:75]
	v_fma_f64 v[74:75], v[76:77], s[2:3], v[74:75]
	s_delay_alu instid0(VALU_DEP_3) | instskip(NEXT) | instid1(VALU_DEP_3)
	v_mul_f64 v[66:67], v[92:93], s[38:39]
	v_add_f64 v[180:181], v[80:81], v[94:95]
	v_mul_f64 v[80:81], v[72:73], s[20:21]
	s_delay_alu instid0(VALU_DEP_4) | instskip(NEXT) | instid1(VALU_DEP_2)
	v_add_f64 v[184:185], v[74:75], v[90:91]
	v_fma_f64 v[74:75], v[78:79], s[2:3], -v[80:81]
	v_fma_f64 v[84:85], v[78:79], s[2:3], v[80:81]
	s_delay_alu instid0(VALU_DEP_2) | instskip(SKIP_1) | instid1(VALU_DEP_3)
	v_add_f64 v[186:187], v[74:75], v[96:97]
	v_mul_f64 v[74:75], v[68:69], s[34:35]
	v_add_f64 v[182:183], v[84:85], v[100:101]
	s_delay_alu instid0(VALU_DEP_2) | instskip(SKIP_1) | instid1(VALU_DEP_2)
	v_fma_f64 v[80:81], v[76:77], s[16:17], -v[74:75]
	v_fma_f64 v[74:75], v[76:77], s[16:17], v[74:75]
	v_add_f64 v[188:189], v[80:81], v[102:103]
	v_mul_f64 v[80:81], v[72:73], s[34:35]
	s_delay_alu instid0(VALU_DEP_3) | instskip(SKIP_1) | instid1(VALU_DEP_3)
	v_add_f64 v[190:191], v[74:75], v[98:99]
	v_add_f64 v[102:103], v[60:61], -v[62:63]
	v_fma_f64 v[74:75], v[78:79], s[16:17], -v[80:81]
	v_fma_f64 v[84:85], v[78:79], s[16:17], v[80:81]
	s_delay_alu instid0(VALU_DEP_3) | instskip(NEXT) | instid1(VALU_DEP_3)
	v_mul_f64 v[64:65], v[102:103], s[38:39]
	v_add_f64 v[192:193], v[74:75], v[152:153]
	v_mul_f64 v[74:75], v[68:69], s[42:43]
	s_delay_alu instid0(VALU_DEP_4) | instskip(NEXT) | instid1(VALU_DEP_2)
	v_add_f64 v[156:157], v[84:85], v[156:157]
	v_fma_f64 v[80:81], v[76:77], s[28:29], -v[74:75]
	v_fma_f64 v[74:75], v[76:77], s[28:29], v[74:75]
	s_delay_alu instid0(VALU_DEP_2) | instskip(SKIP_1) | instid1(VALU_DEP_3)
	v_add_f64 v[158:159], v[80:81], v[158:159]
	v_mul_f64 v[80:81], v[72:73], s[42:43]
	v_add_f64 v[154:155], v[74:75], v[154:155]
	s_delay_alu instid0(VALU_DEP_2) | instskip(SKIP_1) | instid1(VALU_DEP_2)
	v_fma_f64 v[74:75], v[78:79], s[28:29], -v[80:81]
	v_fma_f64 v[84:85], v[78:79], s[28:29], v[80:81]
	v_add_f64 v[152:153], v[74:75], v[162:163]
	v_mul_f64 v[74:75], v[68:69], s[38:39]
	v_mul_f64 v[68:69], v[68:69], s[18:19]
	s_delay_alu instid0(VALU_DEP_4) | instskip(SKIP_1) | instid1(VALU_DEP_4)
	v_add_f64 v[164:165], v[84:85], v[164:165]
	v_mul_f64 v[162:163], v[92:93], s[36:37]
	v_fma_f64 v[80:81], v[76:77], s[22:23], -v[74:75]
	v_fma_f64 v[74:75], v[76:77], s[22:23], v[74:75]
	s_delay_alu instid0(VALU_DEP_2) | instskip(SKIP_1) | instid1(VALU_DEP_3)
	v_add_f64 v[100:101], v[80:81], v[168:169]
	v_mul_f64 v[80:81], v[72:73], s[38:39]
	v_add_f64 v[96:97], v[74:75], v[166:167]
	v_mul_f64 v[72:73], v[72:73], s[18:19]
	s_delay_alu instid0(VALU_DEP_3) | instskip(SKIP_1) | instid1(VALU_DEP_2)
	v_fma_f64 v[74:75], v[78:79], s[22:23], -v[80:81]
	v_fma_f64 v[84:85], v[78:79], s[22:23], v[80:81]
	v_add_f64 v[94:95], v[74:75], v[170:171]
	v_fma_f64 v[74:75], v[76:77], s[14:15], -v[68:69]
	v_fma_f64 v[68:69], v[76:77], s[14:15], v[68:69]
	s_delay_alu instid0(VALU_DEP_4) | instskip(NEXT) | instid1(VALU_DEP_3)
	v_add_f64 v[98:99], v[84:85], v[172:173]
	v_add_f64 v[90:91], v[74:75], v[174:175]
	v_fma_f64 v[74:75], v[78:79], s[14:15], v[72:73]
	s_delay_alu instid0(VALU_DEP_4) | instskip(SKIP_2) | instid1(VALU_DEP_4)
	v_add_f64 v[84:85], v[68:69], v[56:57]
	v_fma_f64 v[56:57], v[78:79], s[14:15], -v[72:73]
	v_mul_f64 v[68:69], v[102:103], s[26:27]
	v_add_f64 v[88:89], v[74:75], v[160:161]
	v_add_f64 v[74:75], v[60:61], v[62:63]
	v_mul_f64 v[60:61], v[102:103], s[30:31]
	v_add_f64 v[72:73], v[56:57], v[58:59]
	v_mul_f64 v[62:63], v[92:93], s[30:31]
	v_mul_f64 v[160:161], v[102:103], s[36:37]
	s_delay_alu instid0(VALU_DEP_4) | instskip(SKIP_1) | instid1(VALU_DEP_4)
	v_fma_f64 v[56:57], v[86:87], s[28:29], -v[60:61]
	v_fma_f64 v[60:61], v[86:87], s[28:29], v[60:61]
	v_fma_f64 v[58:59], v[74:75], s[28:29], v[62:63]
	s_delay_alu instid0(VALU_DEP_3) | instskip(NEXT) | instid1(VALU_DEP_3)
	v_add_f64 v[56:57], v[56:57], v[82:83]
	v_add_f64 v[80:81], v[60:61], v[70:71]
	v_fma_f64 v[60:61], v[74:75], s[28:29], -v[62:63]
	v_mul_f64 v[70:71], v[92:93], s[26:27]
	v_fma_f64 v[62:63], v[74:75], s[22:23], v[66:67]
	v_add_f64 v[58:59], v[58:59], v[176:177]
	s_delay_alu instid0(VALU_DEP_4) | instskip(SKIP_3) | instid1(VALU_DEP_3)
	v_add_f64 v[82:83], v[60:61], v[178:179]
	v_fma_f64 v[60:61], v[86:87], s[22:23], -v[64:65]
	v_fma_f64 v[64:65], v[86:87], s[22:23], v[64:65]
	v_add_f64 v[62:63], v[62:63], v[182:183]
	v_add_f64 v[60:61], v[60:61], v[180:181]
	s_delay_alu instid0(VALU_DEP_3) | instskip(SKIP_3) | instid1(VALU_DEP_3)
	v_add_f64 v[76:77], v[64:65], v[184:185]
	v_fma_f64 v[64:65], v[74:75], s[22:23], -v[66:67]
	v_fma_f64 v[66:67], v[74:75], s[24:25], v[70:71]
	v_fma_f64 v[70:71], v[74:75], s[24:25], -v[70:71]
	v_add_f64 v[78:79], v[64:65], v[186:187]
	s_delay_alu instid0(VALU_DEP_3)
	v_add_f64 v[66:67], v[66:67], v[156:157]
	v_fma_f64 v[156:157], v[86:87], s[16:17], -v[160:161]
	v_fma_f64 v[160:161], v[86:87], s[16:17], v[160:161]
	v_fma_f64 v[64:65], v[86:87], s[24:25], -v[68:69]
	v_fma_f64 v[68:69], v[86:87], s[24:25], v[68:69]
	v_add_f64 v[70:71], v[70:71], v[192:193]
	v_add_f64 v[156:157], v[156:157], v[158:159]
	v_fma_f64 v[158:159], v[74:75], s[16:17], v[162:163]
	v_add_f64 v[160:161], v[160:161], v[154:155]
	v_fma_f64 v[154:155], v[74:75], s[16:17], -v[162:163]
	v_add_f64 v[64:65], v[64:65], v[188:189]
	v_add_f64 v[68:69], v[68:69], v[190:191]
	;; [unrolled: 1-line block ×3, first 2 shown]
	v_mul_f64 v[164:165], v[102:103], s[18:19]
	v_add_f64 v[162:163], v[154:155], v[152:153]
	s_delay_alu instid0(VALU_DEP_2) | instskip(NEXT) | instid1(VALU_DEP_1)
	v_fma_f64 v[152:153], v[86:87], s[14:15], -v[164:165]
	v_add_f64 v[152:153], v[152:153], v[100:101]
	v_mul_f64 v[100:101], v[92:93], s[18:19]
	s_delay_alu instid0(VALU_DEP_1) | instskip(NEXT) | instid1(VALU_DEP_1)
	v_fma_f64 v[154:155], v[74:75], s[14:15], v[100:101]
	v_add_f64 v[154:155], v[154:155], v[98:99]
	v_fma_f64 v[98:99], v[86:87], s[14:15], v[164:165]
	s_delay_alu instid0(VALU_DEP_1) | instskip(SKIP_1) | instid1(VALU_DEP_1)
	v_add_f64 v[96:97], v[98:99], v[96:97]
	v_fma_f64 v[98:99], v[74:75], s[14:15], -v[100:101]
	v_add_f64 v[98:99], v[98:99], v[94:95]
	v_mul_f64 v[94:95], v[102:103], s[20:21]
	s_delay_alu instid0(VALU_DEP_1) | instskip(SKIP_1) | instid1(VALU_DEP_2)
	v_fma_f64 v[100:101], v[86:87], s[2:3], -v[94:95]
	v_fma_f64 v[86:87], v[86:87], s[2:3], v[94:95]
	v_add_f64 v[90:91], v[100:101], v[90:91]
	v_mul_f64 v[100:101], v[92:93], s[20:21]
	s_delay_alu instid0(VALU_DEP_3) | instskip(NEXT) | instid1(VALU_DEP_2)
	v_add_f64 v[84:85], v[86:87], v[84:85]
	v_fma_f64 v[92:93], v[74:75], s[2:3], v[100:101]
	v_fma_f64 v[74:75], v[74:75], s[2:3], -v[100:101]
	s_delay_alu instid0(VALU_DEP_2) | instskip(NEXT) | instid1(VALU_DEP_2)
	v_add_f64 v[92:93], v[92:93], v[88:89]
	v_add_f64 v[86:87], v[74:75], v[72:73]
	v_cndmask_b32_e64 v72, 0, 0x152, s0
	s_delay_alu instid0(VALU_DEP_1)
	v_add_lshl_u32 v237, v201, v72, 4
	ds_store_b128 v237, v[0:3]
	ds_store_b128 v237, v[20:23] offset:416
	ds_store_b128 v237, v[24:27] offset:832
	;; [unrolled: 1-line block ×12, first 2 shown]
	v_and_b32_e32 v0, 0xffff, v202
	s_delay_alu instid0(VALU_DEP_1) | instskip(NEXT) | instid1(VALU_DEP_1)
	v_mul_u32_u24_e32 v0, 0x152, v0
	v_add_lshl_u32 v238, v0, v200, 4
	ds_store_b128 v238, v[40:43]
	ds_store_b128 v238, v[56:59] offset:416
	ds_store_b128 v238, v[60:63] offset:832
	;; [unrolled: 1-line block ×12, first 2 shown]
	s_waitcnt lgkmcnt(0)
	s_barrier
	buffer_gl0_inv
	ds_load_b128 v[100:103], v234
	ds_load_b128 v[8:11], v234 offset:5408
	ds_load_b128 v[12:15], v234 offset:10816
	ds_load_b128 v[16:19], v234 offset:16224
	ds_load_b128 v[96:99], v234 offset:832
	ds_load_b128 v[20:23], v234 offset:6240
	ds_load_b128 v[24:27], v234 offset:11648
	ds_load_b128 v[28:31], v234 offset:17056
	ds_load_b128 v[92:95], v234 offset:1664
	ds_load_b128 v[32:35], v234 offset:7072
	ds_load_b128 v[36:39], v234 offset:12480
	ds_load_b128 v[40:43], v234 offset:17888
	ds_load_b128 v[88:91], v234 offset:2496
	ds_load_b128 v[44:47], v234 offset:7904
	ds_load_b128 v[48:51], v234 offset:13312
	ds_load_b128 v[52:55], v234 offset:18720
	ds_load_b128 v[84:87], v234 offset:3328
	ds_load_b128 v[56:59], v234 offset:8736
	ds_load_b128 v[60:63], v234 offset:14144
	ds_load_b128 v[64:67], v234 offset:19552
	ds_load_b128 v[0:3], v234 offset:4160
	ds_load_b128 v[68:71], v234 offset:9568
	ds_load_b128 v[72:75], v234 offset:14976
	ds_load_b128 v[160:163], v234 offset:20384
	s_and_saveexec_b32 s1, s0
	s_delay_alu instid0(SALU_CYCLE_1)
	s_xor_b32 s0, exec_lo, s1
; %bb.2:
                                        ; implicit-def: $vgpr199
; %bb.3:
	s_delay_alu instid0(SALU_CYCLE_1) | instskip(NEXT) | instid1(SALU_CYCLE_1)
	s_or_saveexec_b32 s0, s0
                                        ; implicit-def: $vgpr156_vgpr157
                                        ; implicit-def: $vgpr152_vgpr153
	s_xor_b32 exec_lo, exec_lo, s0
	s_cbranch_execz .LBB0_5
; %bb.4:
	ds_load_b128 v[76:79], v234 offset:4992
	ds_load_b128 v[80:83], v234 offset:10400
	;; [unrolled: 1-line block ×4, first 2 shown]
	v_mov_b32_e32 v218, v199
.LBB0_5:
	s_or_b32 exec_lo, exec_lo, s0
	v_mad_u64_u32 v[4:5], null, v240, 48, s[10:11]
	s_delay_alu instid0(VALU_DEP_1) | instskip(NEXT) | instid1(VALU_DEP_1)
	v_add_co_u32 v6, s0, 0x1000, v4
	v_add_co_ci_u32_e64 v7, s0, 0, v5, s0
	global_load_b128 v[166:169], v[6:7], off offset:1280
	s_waitcnt vmcnt(0) lgkmcnt(22)
	v_mul_f64 v[164:165], v[10:11], v[168:169]
	scratch_store_b128 off, v[166:169], off offset:840 ; 16-byte Folded Spill
	v_fma_f64 v[164:165], v[8:9], v[166:167], -v[164:165]
	v_mul_f64 v[8:9], v[8:9], v[168:169]
	s_delay_alu instid0(VALU_DEP_1) | instskip(SKIP_1) | instid1(VALU_DEP_1)
	v_fma_f64 v[166:167], v[10:11], v[166:167], v[8:9]
	v_add_co_u32 v8, s0, 0x1500, v4
	v_add_co_ci_u32_e64 v9, s0, 0, v5, s0
	global_load_b128 v[168:171], v[8:9], off offset:16
	s_waitcnt vmcnt(0) lgkmcnt(21)
	v_mul_f64 v[10:11], v[14:15], v[170:171]
	s_delay_alu instid0(VALU_DEP_1) | instskip(SKIP_1) | instid1(VALU_DEP_1)
	v_fma_f64 v[228:229], v[12:13], v[168:169], -v[10:11]
	v_mul_f64 v[10:11], v[12:13], v[170:171]
	v_fma_f64 v[232:233], v[14:15], v[168:169], v[10:11]
	global_load_b128 v[10:13], v[8:9], off offset:32
	scratch_store_b128 off, v[168:171], off offset:856 ; 16-byte Folded Spill
	s_waitcnt vmcnt(0)
	scratch_store_b128 off, v[10:13], off offset:872 ; 16-byte Folded Spill
	s_waitcnt lgkmcnt(20)
	v_mul_f64 v[8:9], v[18:19], v[12:13]
	s_delay_alu instid0(VALU_DEP_1) | instskip(SKIP_1) | instid1(VALU_DEP_2)
	v_fma_f64 v[226:227], v[16:17], v[10:11], -v[8:9]
	v_mul_f64 v[8:9], v[16:17], v[12:13]
	v_add_f64 v[226:227], v[164:165], -v[226:227]
	s_delay_alu instid0(VALU_DEP_2)
	v_fma_f64 v[230:231], v[18:19], v[10:11], v[8:9]
	global_load_b128 v[8:11], v[6:7], off offset:3776
	s_waitcnt vmcnt(0) lgkmcnt(18)
	v_mul_f64 v[6:7], v[22:23], v[10:11]
	scratch_store_b128 off, v[8:11], off offset:888 ; 16-byte Folded Spill
	v_fma_f64 v[168:169], v[20:21], v[8:9], -v[6:7]
	v_mul_f64 v[6:7], v[20:21], v[10:11]
	s_delay_alu instid0(VALU_DEP_1) | instskip(SKIP_1) | instid1(VALU_DEP_1)
	v_fma_f64 v[170:171], v[22:23], v[8:9], v[6:7]
	v_add_co_u32 v6, s0, 0x1ec0, v4
	v_add_co_ci_u32_e64 v7, s0, 0, v5, s0
	global_load_b128 v[10:13], v[6:7], off offset:16
	s_waitcnt vmcnt(0) lgkmcnt(17)
	v_mul_f64 v[8:9], v[26:27], v[12:13]
	scratch_store_b128 off, v[10:13], off offset:904 ; 16-byte Folded Spill
	v_fma_f64 v[184:185], v[24:25], v[10:11], -v[8:9]
	v_mul_f64 v[8:9], v[24:25], v[12:13]
	s_delay_alu instid0(VALU_DEP_1) | instskip(SKIP_3) | instid1(VALU_DEP_1)
	v_fma_f64 v[188:189], v[26:27], v[10:11], v[8:9]
	global_load_b128 v[24:27], v[6:7], off offset:32
	s_waitcnt vmcnt(0) lgkmcnt(16)
	v_mul_f64 v[6:7], v[30:31], v[26:27]
	v_fma_f64 v[186:187], v[28:29], v[24:25], -v[6:7]
	v_mul_f64 v[6:7], v[28:29], v[26:27]
	s_delay_alu instid0(VALU_DEP_2) | instskip(NEXT) | instid1(VALU_DEP_2)
	v_add_f64 v[14:15], v[168:169], -v[186:187]
	v_fma_f64 v[190:191], v[30:31], v[24:25], v[6:7]
	v_add_co_u32 v6, s0, 0x2000, v4
	s_delay_alu instid0(VALU_DEP_1) | instskip(SKIP_4) | instid1(VALU_DEP_1)
	v_add_co_ci_u32_e64 v7, s0, 0, v5, s0
	global_load_b128 v[28:31], v[6:7], off offset:2176
	v_add_f64 v[12:13], v[170:171], -v[190:191]
	s_waitcnt vmcnt(0) lgkmcnt(14)
	v_mul_f64 v[6:7], v[34:35], v[30:31]
	v_fma_f64 v[172:173], v[32:33], v[28:29], -v[6:7]
	v_mul_f64 v[6:7], v[32:33], v[30:31]
	s_delay_alu instid0(VALU_DEP_1) | instskip(SKIP_1) | instid1(VALU_DEP_1)
	v_fma_f64 v[174:175], v[34:35], v[28:29], v[6:7]
	v_add_co_u32 v6, s0, 0x2880, v4
	v_add_co_ci_u32_e64 v7, s0, 0, v5, s0
	global_load_b128 v[32:35], v[6:7], off offset:16
	s_waitcnt vmcnt(0) lgkmcnt(13)
	v_mul_f64 v[8:9], v[38:39], v[34:35]
	s_delay_alu instid0(VALU_DEP_1) | instskip(SKIP_1) | instid1(VALU_DEP_1)
	v_fma_f64 v[192:193], v[36:37], v[32:33], -v[8:9]
	v_mul_f64 v[8:9], v[36:37], v[34:35]
	v_fma_f64 v[196:197], v[38:39], v[32:33], v[8:9]
	global_load_b128 v[36:39], v[6:7], off offset:32
	s_waitcnt vmcnt(0) lgkmcnt(12)
	v_mul_f64 v[6:7], v[42:43], v[38:39]
	s_delay_alu instid0(VALU_DEP_1) | instskip(SKIP_1) | instid1(VALU_DEP_2)
	v_fma_f64 v[194:195], v[40:41], v[36:37], -v[6:7]
	v_mul_f64 v[6:7], v[40:41], v[38:39]
	v_add_f64 v[190:191], v[172:173], -v[194:195]
	s_delay_alu instid0(VALU_DEP_2) | instskip(SKIP_1) | instid1(VALU_DEP_1)
	v_fma_f64 v[198:199], v[42:43], v[36:37], v[6:7]
	v_add_co_u32 v6, s0, 0x3000, v4
	v_add_co_ci_u32_e64 v7, s0, 0, v5, s0
	global_load_b128 v[40:43], v[6:7], off offset:576
	s_waitcnt vmcnt(0) lgkmcnt(10)
	v_mul_f64 v[8:9], v[46:47], v[42:43]
	s_delay_alu instid0(VALU_DEP_1) | instskip(SKIP_1) | instid1(VALU_DEP_1)
	v_fma_f64 v[176:177], v[44:45], v[40:41], -v[8:9]
	v_mul_f64 v[8:9], v[44:45], v[42:43]
	v_fma_f64 v[178:179], v[46:47], v[40:41], v[8:9]
	v_add_co_u32 v8, s0, 0x3240, v4
	s_delay_alu instid0(VALU_DEP_1) | instskip(SKIP_3) | instid1(VALU_DEP_1)
	v_add_co_ci_u32_e64 v9, s0, 0, v5, s0
	global_load_b128 v[44:47], v[8:9], off offset:16
	s_waitcnt vmcnt(0) lgkmcnt(9)
	v_mul_f64 v[10:11], v[50:51], v[46:47]
	v_fma_f64 v[204:205], v[48:49], v[44:45], -v[10:11]
	v_mul_f64 v[10:11], v[48:49], v[46:47]
	s_delay_alu instid0(VALU_DEP_1) | instskip(SKIP_3) | instid1(VALU_DEP_1)
	v_fma_f64 v[220:221], v[50:51], v[44:45], v[10:11]
	global_load_b128 v[48:51], v[8:9], off offset:32
	s_waitcnt vmcnt(0) lgkmcnt(8)
	v_mul_f64 v[8:9], v[54:55], v[50:51]
	v_fma_f64 v[206:207], v[52:53], v[48:49], -v[8:9]
	v_mul_f64 v[8:9], v[52:53], v[50:51]
	s_delay_alu instid0(VALU_DEP_1) | instskip(SKIP_3) | instid1(VALU_DEP_1)
	v_fma_f64 v[222:223], v[54:55], v[48:49], v[8:9]
	global_load_b128 v[52:55], v[6:7], off offset:3072
	s_waitcnt vmcnt(0) lgkmcnt(6)
	v_mul_f64 v[6:7], v[58:59], v[54:55]
	v_fma_f64 v[180:181], v[56:57], v[52:53], -v[6:7]
	v_mul_f64 v[6:7], v[56:57], v[54:55]
	s_delay_alu instid0(VALU_DEP_1) | instskip(SKIP_1) | instid1(VALU_DEP_1)
	v_fma_f64 v[182:183], v[58:59], v[52:53], v[6:7]
	v_add_co_u32 v6, s0, 0x3c00, v4
	v_add_co_ci_u32_e64 v7, s0, 0, v5, s0
	global_load_b128 v[56:59], v[6:7], off offset:16
	s_waitcnt vmcnt(0) lgkmcnt(5)
	v_mul_f64 v[8:9], v[62:63], v[58:59]
	s_delay_alu instid0(VALU_DEP_1) | instskip(SKIP_1) | instid1(VALU_DEP_1)
	v_fma_f64 v[252:253], v[60:61], v[56:57], -v[8:9]
	v_mul_f64 v[8:9], v[60:61], v[58:59]
	v_fma_f64 v[208:209], v[62:63], v[56:57], v[8:9]
	global_load_b128 v[60:63], v[6:7], off offset:32
	s_waitcnt vmcnt(0) lgkmcnt(4)
	v_mul_f64 v[6:7], v[66:67], v[62:63]
	s_delay_alu instid0(VALU_DEP_1) | instskip(SKIP_1) | instid1(VALU_DEP_1)
	v_fma_f64 v[254:255], v[64:65], v[60:61], -v[6:7]
	v_mul_f64 v[6:7], v[64:65], v[62:63]
	v_fma_f64 v[210:211], v[66:67], v[60:61], v[6:7]
	v_add_co_u32 v6, s0, 0x4000, v4
	s_delay_alu instid0(VALU_DEP_1) | instskip(SKIP_1) | instid1(VALU_DEP_1)
	v_add_co_ci_u32_e64 v7, s0, 0, v5, s0
	v_add_co_u32 v4, s0, 0x45c0, v4
	v_add_co_ci_u32_e64 v5, s0, 0, v5, s0
	global_load_b128 v[64:67], v[6:7], off offset:1472
	s_waitcnt vmcnt(0) lgkmcnt(2)
	v_mul_f64 v[6:7], v[70:71], v[66:67]
	s_delay_alu instid0(VALU_DEP_1) | instskip(SKIP_1) | instid1(VALU_DEP_1)
	v_fma_f64 v[200:201], v[68:69], v[64:65], -v[6:7]
	v_mul_f64 v[6:7], v[68:69], v[66:67]
	v_fma_f64 v[202:203], v[70:71], v[64:65], v[6:7]
	global_load_b128 v[68:71], v[4:5], off offset:16
	s_waitcnt vmcnt(0) lgkmcnt(1)
	v_mul_f64 v[6:7], v[74:75], v[70:71]
	s_delay_alu instid0(VALU_DEP_1) | instskip(SKIP_1) | instid1(VALU_DEP_1)
	v_fma_f64 v[212:213], v[72:73], v[68:69], -v[6:7]
	v_mul_f64 v[6:7], v[72:73], v[70:71]
	v_fma_f64 v[216:217], v[74:75], v[68:69], v[6:7]
	global_load_b128 v[72:75], v[4:5], off offset:32
	s_waitcnt vmcnt(0) lgkmcnt(0)
	v_mul_f64 v[4:5], v[162:163], v[74:75]
	s_delay_alu instid0(VALU_DEP_1) | instskip(SKIP_1) | instid1(VALU_DEP_2)
	v_fma_f64 v[214:215], v[160:161], v[72:73], -v[4:5]
	v_mul_f64 v[4:5], v[160:161], v[74:75]
	v_add_f64 v[214:215], v[200:201], -v[214:215]
	s_delay_alu instid0(VALU_DEP_2) | instskip(SKIP_2) | instid1(VALU_DEP_2)
	v_fma_f64 v[160:161], v[162:163], v[72:73], v[4:5]
	v_mul_i32_i24_e32 v4, 48, v218
	v_mul_hi_i32_i24_e32 v5, 48, v218
	v_add_co_u32 v6, s0, s10, v4
	s_delay_alu instid0(VALU_DEP_1) | instskip(NEXT) | instid1(VALU_DEP_2)
	v_add_co_ci_u32_e64 v7, s0, s11, v5, s0
	v_add_co_u32 v4, s0, 0x1000, v6
	s_delay_alu instid0(VALU_DEP_1)
	v_add_co_ci_u32_e64 v5, s0, 0, v7, s0
	global_load_b128 v[8:11], v[4:5], off offset:1280
	v_add_f64 v[160:161], v[202:203], -v[160:161]
	s_waitcnt vmcnt(0)
	v_mul_f64 v[4:5], v[82:83], v[10:11]
	scratch_store_b128 off, v[8:11], off offset:920 ; 16-byte Folded Spill
	v_fma_f64 v[162:163], v[80:81], v[8:9], -v[4:5]
	v_mul_f64 v[4:5], v[80:81], v[10:11]
	s_delay_alu instid0(VALU_DEP_1) | instskip(SKIP_1) | instid1(VALU_DEP_1)
	v_fma_f64 v[218:219], v[82:83], v[8:9], v[4:5]
	v_add_co_u32 v4, s0, 0x1500, v6
	v_add_co_ci_u32_e64 v5, s0, 0, v7, s0
	global_load_b128 v[8:11], v[4:5], off offset:16
	s_waitcnt vmcnt(0)
	v_mul_f64 v[6:7], v[154:155], v[10:11]
	scratch_store_b128 off, v[8:11], off offset:936 ; 16-byte Folded Spill
	v_fma_f64 v[224:225], v[152:153], v[8:9], -v[6:7]
	v_mul_f64 v[6:7], v[152:153], v[10:11]
	s_delay_alu instid0(VALU_DEP_1)
	v_fma_f64 v[152:153], v[154:155], v[8:9], v[6:7]
	global_load_b128 v[6:9], v[4:5], off offset:32
	s_waitcnt vmcnt(0)
	v_mul_f64 v[4:5], v[158:159], v[8:9]
	scratch_store_b128 off, v[6:9], off offset:952 ; 16-byte Folded Spill
	v_fma_f64 v[154:155], v[156:157], v[6:7], -v[4:5]
	v_mul_f64 v[4:5], v[156:157], v[8:9]
	s_delay_alu instid0(VALU_DEP_1) | instskip(SKIP_3) | instid1(VALU_DEP_3)
	v_fma_f64 v[156:157], v[158:159], v[6:7], v[4:5]
	v_add_f64 v[4:5], v[100:101], -v[228:229]
	v_add_f64 v[6:7], v[102:103], -v[232:233]
	;; [unrolled: 1-line block ×3, first 2 shown]
	v_fma_f64 v[100:101], v[100:101], 2.0, -v[4:5]
	s_delay_alu instid0(VALU_DEP_3) | instskip(NEXT) | instid1(VALU_DEP_3)
	v_add_f64 v[230:231], v[6:7], v[226:227]
	v_add_f64 v[228:229], v[4:5], -v[158:159]
	v_fma_f64 v[102:103], v[102:103], 2.0, -v[6:7]
	s_delay_alu instid0(VALU_DEP_3) | instskip(NEXT) | instid1(VALU_DEP_3)
	v_fma_f64 v[82:83], v[6:7], 2.0, -v[230:231]
	v_fma_f64 v[80:81], v[4:5], 2.0, -v[228:229]
	v_add_f64 v[4:5], v[96:97], -v[184:185]
	v_add_f64 v[6:7], v[98:99], -v[188:189]
	;; [unrolled: 1-line block ×4, first 2 shown]
	s_delay_alu instid0(VALU_DEP_4) | instskip(NEXT) | instid1(VALU_DEP_4)
	v_fma_f64 v[8:9], v[96:97], 2.0, -v[4:5]
	v_fma_f64 v[10:11], v[98:99], 2.0, -v[6:7]
	v_add_f64 v[96:97], v[4:5], -v[12:13]
	v_add_f64 v[98:99], v[6:7], v[14:15]
	ds_store_b128 v234, v[228:231] offset:16224
	v_fma_f64 v[184:185], v[4:5], 2.0, -v[96:97]
	ds_store_b128 v234, v[96:99] offset:17056
	v_fma_f64 v[186:187], v[6:7], 2.0, -v[98:99]
	v_add_f64 v[4:5], v[92:93], -v[192:193]
	v_add_f64 v[6:7], v[94:95], -v[196:197]
	;; [unrolled: 1-line block ×3, first 2 shown]
	s_delay_alu instid0(VALU_DEP_3) | instskip(NEXT) | instid1(VALU_DEP_3)
	v_fma_f64 v[16:17], v[92:93], 2.0, -v[4:5]
	v_fma_f64 v[18:19], v[94:95], 2.0, -v[6:7]
	v_add_f64 v[92:93], v[4:5], -v[188:189]
	v_add_f64 v[94:95], v[6:7], v[190:191]
	s_delay_alu instid0(VALU_DEP_2) | instskip(NEXT) | instid1(VALU_DEP_2)
	v_fma_f64 v[96:97], v[4:5], 2.0, -v[92:93]
	v_fma_f64 v[98:99], v[6:7], 2.0, -v[94:95]
	v_add_f64 v[4:5], v[88:89], -v[204:205]
	v_add_f64 v[6:7], v[90:91], -v[220:221]
	s_delay_alu instid0(VALU_DEP_2) | instskip(NEXT) | instid1(VALU_DEP_2)
	v_fma_f64 v[192:193], v[88:89], 2.0, -v[4:5]
	v_fma_f64 v[194:195], v[90:91], 2.0, -v[6:7]
	v_add_f64 v[88:89], v[4:5], -v[196:197]
	v_add_f64 v[90:91], v[6:7], v[198:199]
	ds_store_b128 v234, v[92:95] offset:17888
	v_fma_f64 v[92:93], v[4:5], 2.0, -v[88:89]
	ds_store_b128 v234, v[88:91] offset:18720
	v_fma_f64 v[94:95], v[6:7], 2.0, -v[90:91]
	v_add_f64 v[4:5], v[84:85], -v[252:253]
	v_add_f64 v[6:7], v[86:87], -v[208:209]
	;; [unrolled: 1-line block ×4, first 2 shown]
	s_delay_alu instid0(VALU_DEP_4) | instskip(NEXT) | instid1(VALU_DEP_4)
	v_fma_f64 v[204:205], v[84:85], 2.0, -v[4:5]
	v_fma_f64 v[206:207], v[86:87], 2.0, -v[6:7]
	s_delay_alu instid0(VALU_DEP_4) | instskip(NEXT) | instid1(VALU_DEP_4)
	v_add_f64 v[84:85], v[4:5], -v[208:209]
	v_add_f64 v[86:87], v[6:7], v[210:211]
	s_delay_alu instid0(VALU_DEP_2) | instskip(NEXT) | instid1(VALU_DEP_2)
	v_fma_f64 v[88:89], v[4:5], 2.0, -v[84:85]
	v_fma_f64 v[90:91], v[6:7], 2.0, -v[86:87]
	v_add_f64 v[4:5], v[0:1], -v[212:213]
	v_add_f64 v[6:7], v[2:3], -v[216:217]
	ds_store_b128 v234, v[84:87] offset:19552
	v_fma_f64 v[212:213], v[0:1], 2.0, -v[4:5]
	v_fma_f64 v[216:217], v[2:3], 2.0, -v[6:7]
	v_add_f64 v[0:1], v[4:5], -v[160:161]
	v_add_f64 v[2:3], v[6:7], v[214:215]
	ds_store_b128 v234, v[0:3] offset:20384
	ds_store_b128 v234, v[80:83] offset:5408
	v_fma_f64 v[84:85], v[4:5], 2.0, -v[0:1]
	v_fma_f64 v[86:87], v[6:7], 2.0, -v[2:3]
	;; [unrolled: 1-line block ×4, first 2 shown]
	v_add_f64 v[4:5], v[162:163], -v[154:155]
	v_add_f64 v[6:7], v[218:219], -v[156:157]
	s_delay_alu instid0(VALU_DEP_4) | instskip(NEXT) | instid1(VALU_DEP_4)
	v_add_f64 v[0:1], v[100:101], -v[0:1]
	v_add_f64 v[2:3], v[102:103], -v[2:3]
	ds_store_b128 v234, v[0:3] offset:10816
	ds_store_b128 v234, v[184:187] offset:6240
	v_fma_f64 v[80:81], v[100:101], 2.0, -v[0:1]
	v_fma_f64 v[82:83], v[102:103], 2.0, -v[2:3]
	;; [unrolled: 1-line block ×4, first 2 shown]
	s_delay_alu instid0(VALU_DEP_2) | instskip(NEXT) | instid1(VALU_DEP_2)
	v_add_f64 v[0:1], v[8:9], -v[0:1]
	v_add_f64 v[2:3], v[10:11], -v[2:3]
	ds_store_b128 v234, v[0:3] offset:11648
	ds_store_b128 v234, v[96:99] offset:7072
	v_fma_f64 v[100:101], v[8:9], 2.0, -v[0:1]
	v_fma_f64 v[102:103], v[10:11], 2.0, -v[2:3]
	;; [unrolled: 1-line block ×6, first 2 shown]
	s_delay_alu instid0(VALU_DEP_4) | instskip(NEXT) | instid1(VALU_DEP_4)
	v_add_f64 v[0:1], v[16:17], -v[0:1]
	v_add_f64 v[2:3], v[18:19], -v[2:3]
	ds_store_b128 v234, v[0:3] offset:12480
	ds_store_b128 v234, v[92:95] offset:7904
	v_fma_f64 v[96:97], v[16:17], 2.0, -v[0:1]
	v_fma_f64 v[98:99], v[18:19], 2.0, -v[2:3]
	v_fma_f64 v[0:1], v[176:177], 2.0, -v[198:199]
	v_fma_f64 v[2:3], v[178:179], 2.0, -v[196:197]
	s_delay_alu instid0(VALU_DEP_2) | instskip(NEXT) | instid1(VALU_DEP_2)
	v_add_f64 v[0:1], v[192:193], -v[0:1]
	v_add_f64 v[2:3], v[194:195], -v[2:3]
	ds_store_b128 v234, v[0:3] offset:13312
	ds_store_b128 v234, v[88:91] offset:8736
	v_fma_f64 v[92:93], v[192:193], 2.0, -v[0:1]
	v_fma_f64 v[94:95], v[194:195], 2.0, -v[2:3]
	v_fma_f64 v[0:1], v[180:181], 2.0, -v[210:211]
	v_fma_f64 v[2:3], v[182:183], 2.0, -v[208:209]
	s_delay_alu instid0(VALU_DEP_2) | instskip(NEXT) | instid1(VALU_DEP_2)
	;; [unrolled: 9-line block ×3, first 2 shown]
	v_add_f64 v[0:1], v[212:213], -v[0:1]
	v_add_f64 v[2:3], v[216:217], -v[2:3]
	s_delay_alu instid0(VALU_DEP_2) | instskip(NEXT) | instid1(VALU_DEP_2)
	v_fma_f64 v[84:85], v[212:213], 2.0, -v[0:1]
	v_fma_f64 v[86:87], v[216:217], 2.0, -v[2:3]
	ds_store_b128 v234, v[0:3] offset:14976
	ds_store_b128 v234, v[80:83]
	ds_store_b128 v234, v[100:103] offset:832
	ds_store_b128 v234, v[96:99] offset:1664
	;; [unrolled: 1-line block ×5, first 2 shown]
	v_add_f64 v[0:1], v[76:77], -v[224:225]
	v_add_f64 v[80:81], v[78:79], -v[152:153]
	v_add_nc_u32_e32 v89, 0xd00, v239
	v_add_nc_u32_e32 v88, 0x1380, v239
	;; [unrolled: 1-line block ×10, first 2 shown]
	v_fma_f64 v[2:3], v[76:77], 2.0, -v[0:1]
	v_fma_f64 v[76:77], v[78:79], 2.0, -v[80:81]
	v_add_f64 v[12:13], v[0:1], -v[6:7]
	v_add_f64 v[14:15], v[80:81], v[4:5]
	s_delay_alu instid0(VALU_DEP_4) | instskip(NEXT) | instid1(VALU_DEP_4)
	v_add_f64 v[4:5], v[2:3], -v[8:9]
	v_add_f64 v[6:7], v[76:77], -v[10:11]
	s_clause 0x1
	scratch_store_b128 off, v[12:15], off offset:16
	scratch_store_b128 off, v[4:7], off
	s_and_saveexec_b32 s0, vcc_lo
	s_cbranch_execz .LBB0_7
; %bb.6:
	s_clause 0x1
	scratch_load_b128 v[8:11], off, off offset:16
	scratch_load_b128 v[4:7], off, off
	s_waitcnt vmcnt(1)
	v_fma_f64 v[92:93], v[80:81], 2.0, -v[10:11]
	s_waitcnt vmcnt(0)
	v_fma_f64 v[96:97], v[76:77], 2.0, -v[6:7]
	v_fma_f64 v[94:95], v[2:3], 2.0, -v[4:5]
	;; [unrolled: 1-line block ×3, first 2 shown]
	ds_store_b128 v234, v[4:7] offset:15808
	ds_store_b128 v234, v[94:97] offset:4992
	ds_store_b128 v234, v[90:93] offset:10400
	ds_store_b128 v234, v[8:11] offset:21216
.LBB0_7:
	s_or_b32 exec_lo, exec_lo, s0
	v_lshlrev_b32_e32 v6, 4, v240
	s_add_u32 s2, s8, 0x5480
	s_addc_u32 s3, s9, 0
	s_waitcnt lgkmcnt(0)
	s_waitcnt_vscnt null, 0x0
	s_barrier
	buffer_gl0_inv
	global_load_b128 v[90:93], v6, s[2:3]
	ds_load_b128 v[0:3], v234
	v_add_co_u32 v76, s0, s2, v6
	s_delay_alu instid0(VALU_DEP_1)
	v_add_co_ci_u32_e64 v77, null, s3, 0, s0
	scratch_store_b32 off, v240, off offset:32 ; 4-byte Folded Spill
	s_mov_b32 s26, 0x4267c47c
	s_mov_b32 s27, 0xbfddbe06
	;; [unrolled: 1-line block ×30, first 2 shown]
	s_waitcnt vmcnt(0) lgkmcnt(0)
	v_mul_f64 v[4:5], v[2:3], v[92:93]
	s_delay_alu instid0(VALU_DEP_1) | instskip(SKIP_1) | instid1(VALU_DEP_1)
	v_fma_f64 v[94:95], v[0:1], v[90:91], -v[4:5]
	v_mul_f64 v[0:1], v[0:1], v[92:93]
	v_fma_f64 v[96:97], v[2:3], v[90:91], v[0:1]
	v_add_co_u32 v0, s0, 0x2000, v76
	s_delay_alu instid0(VALU_DEP_1)
	v_add_co_ci_u32_e64 v1, s0, 0, v77, s0
	ds_load_b128 v[90:93], v234 offset:10816
	ds_store_b128 v234, v[94:97]
	global_load_b128 v[94:97], v[0:1], off offset:2624
	s_waitcnt vmcnt(0) lgkmcnt(1)
	v_mul_f64 v[2:3], v[92:93], v[96:97]
	s_delay_alu instid0(VALU_DEP_1) | instskip(SKIP_1) | instid1(VALU_DEP_1)
	v_fma_f64 v[98:99], v[90:91], v[94:95], -v[2:3]
	v_mul_f64 v[2:3], v[90:91], v[96:97]
	v_fma_f64 v[100:101], v[92:93], v[94:95], v[2:3]
	global_load_b128 v[94:97], v6, s[2:3] offset:832
	ds_load_b128 v[90:93], v234 offset:832
	ds_store_b128 v234, v[98:101] offset:10816
	s_waitcnt vmcnt(0) lgkmcnt(1)
	v_mul_f64 v[2:3], v[92:93], v[96:97]
	s_delay_alu instid0(VALU_DEP_1) | instskip(SKIP_1) | instid1(VALU_DEP_1)
	v_fma_f64 v[98:99], v[90:91], v[94:95], -v[2:3]
	v_mul_f64 v[2:3], v[90:91], v[96:97]
	v_fma_f64 v[100:101], v[92:93], v[94:95], v[2:3]
	global_load_b128 v[94:97], v[0:1], off offset:3456
	ds_load_b128 v[90:93], v234 offset:11648
	ds_store_b128 v234, v[98:101] offset:832
	s_waitcnt vmcnt(0) lgkmcnt(1)
	v_mul_f64 v[2:3], v[92:93], v[96:97]
	s_delay_alu instid0(VALU_DEP_1) | instskip(SKIP_1) | instid1(VALU_DEP_1)
	v_fma_f64 v[98:99], v[90:91], v[94:95], -v[2:3]
	v_mul_f64 v[2:3], v[90:91], v[96:97]
	v_fma_f64 v[100:101], v[92:93], v[94:95], v[2:3]
	global_load_b128 v[94:97], v6, s[2:3] offset:1664
	ds_load_b128 v[90:93], v234 offset:1664
	ds_store_b128 v234, v[98:101] offset:11648
	s_waitcnt vmcnt(0) lgkmcnt(1)
	v_mul_f64 v[2:3], v[92:93], v[96:97]
	s_delay_alu instid0(VALU_DEP_1) | instskip(SKIP_1) | instid1(VALU_DEP_1)
	v_fma_f64 v[98:99], v[90:91], v[94:95], -v[2:3]
	v_mul_f64 v[2:3], v[90:91], v[96:97]
	v_fma_f64 v[100:101], v[92:93], v[94:95], v[2:3]
	v_add_co_u32 v2, s0, 0x3000, v76
	s_delay_alu instid0(VALU_DEP_1)
	v_add_co_ci_u32_e64 v3, s0, 0, v77, s0
	ds_load_b128 v[90:93], v234 offset:12480
	global_load_b128 v[94:97], v[2:3], off offset:192
	ds_store_b128 v234, v[98:101] offset:1664
	s_waitcnt vmcnt(0) lgkmcnt(1)
	v_mul_f64 v[4:5], v[92:93], v[96:97]
	s_delay_alu instid0(VALU_DEP_1) | instskip(SKIP_1) | instid1(VALU_DEP_1)
	v_fma_f64 v[98:99], v[90:91], v[94:95], -v[4:5]
	v_mul_f64 v[4:5], v[90:91], v[96:97]
	v_fma_f64 v[100:101], v[92:93], v[94:95], v[4:5]
	global_load_b128 v[94:97], v6, s[2:3] offset:2496
	ds_load_b128 v[90:93], v234 offset:2496
	ds_store_b128 v234, v[98:101] offset:12480
	s_waitcnt vmcnt(0) lgkmcnt(1)
	v_mul_f64 v[4:5], v[92:93], v[96:97]
	s_delay_alu instid0(VALU_DEP_1) | instskip(SKIP_1) | instid1(VALU_DEP_1)
	v_fma_f64 v[98:99], v[90:91], v[94:95], -v[4:5]
	v_mul_f64 v[4:5], v[90:91], v[96:97]
	v_fma_f64 v[100:101], v[92:93], v[94:95], v[4:5]
	global_load_b128 v[94:97], v242, s[2:3]
	ds_load_b128 v[90:93], v234 offset:13312
	ds_store_b128 v234, v[98:101] offset:2496
	s_waitcnt vmcnt(0) lgkmcnt(1)
	v_mul_f64 v[4:5], v[92:93], v[96:97]
	s_delay_alu instid0(VALU_DEP_1) | instskip(SKIP_1) | instid1(VALU_DEP_1)
	v_fma_f64 v[98:99], v[90:91], v[94:95], -v[4:5]
	v_mul_f64 v[4:5], v[90:91], v[96:97]
	v_fma_f64 v[100:101], v[92:93], v[94:95], v[4:5]
	global_load_b128 v[94:97], v6, s[2:3] offset:3328
	ds_load_b128 v[90:93], v234 offset:3328
	s_mov_b32 s2, 0xebaa3ed8
	s_mov_b32 s3, 0x3fbedb7d
	ds_store_b128 v234, v[98:101] offset:13312
	s_waitcnt vmcnt(0) lgkmcnt(1)
	v_mul_f64 v[4:5], v[92:93], v[96:97]
	s_delay_alu instid0(VALU_DEP_1) | instskip(SKIP_1) | instid1(VALU_DEP_1)
	v_fma_f64 v[98:99], v[90:91], v[94:95], -v[4:5]
	v_mul_f64 v[4:5], v[90:91], v[96:97]
	v_fma_f64 v[100:101], v[92:93], v[94:95], v[4:5]
	global_load_b128 v[94:97], v[2:3], off offset:1856
	ds_load_b128 v[90:93], v234 offset:14144
	ds_store_b128 v234, v[98:101] offset:3328
	s_waitcnt vmcnt(0) lgkmcnt(1)
	v_mul_f64 v[4:5], v[92:93], v[96:97]
	s_delay_alu instid0(VALU_DEP_1) | instskip(SKIP_1) | instid1(VALU_DEP_1)
	v_fma_f64 v[98:99], v[90:91], v[94:95], -v[4:5]
	v_mul_f64 v[4:5], v[90:91], v[96:97]
	v_fma_f64 v[100:101], v[92:93], v[94:95], v[4:5]
	v_add_co_u32 v4, s0, 0x1000, v76
	s_delay_alu instid0(VALU_DEP_1)
	v_add_co_ci_u32_e64 v5, s0, 0, v77, s0
	ds_load_b128 v[90:93], v234 offset:4160
	global_load_b128 v[94:97], v[4:5], off offset:64
	ds_store_b128 v234, v[98:101] offset:14144
	s_waitcnt vmcnt(0) lgkmcnt(1)
	v_mul_f64 v[6:7], v[92:93], v[96:97]
	s_delay_alu instid0(VALU_DEP_1) | instskip(SKIP_1) | instid1(VALU_DEP_1)
	v_fma_f64 v[98:99], v[90:91], v[94:95], -v[6:7]
	v_mul_f64 v[6:7], v[90:91], v[96:97]
	v_fma_f64 v[100:101], v[92:93], v[94:95], v[6:7]
	global_load_b128 v[94:97], v[2:3], off offset:2688
	ds_load_b128 v[90:93], v234 offset:14976
	ds_store_b128 v234, v[98:101] offset:4160
	s_waitcnt vmcnt(0) lgkmcnt(1)
	v_mul_f64 v[6:7], v[92:93], v[96:97]
	s_delay_alu instid0(VALU_DEP_1) | instskip(SKIP_1) | instid1(VALU_DEP_1)
	v_fma_f64 v[98:99], v[90:91], v[94:95], -v[6:7]
	v_mul_f64 v[6:7], v[90:91], v[96:97]
	v_fma_f64 v[100:101], v[92:93], v[94:95], v[6:7]
	global_load_b128 v[94:97], v[4:5], off offset:896
	ds_load_b128 v[90:93], v234 offset:4992
	;; [unrolled: 9-line block ×4, first 2 shown]
	ds_store_b128 v234, v[98:101] offset:15808
	s_waitcnt vmcnt(0) lgkmcnt(1)
	v_mul_f64 v[2:3], v[92:93], v[96:97]
	s_delay_alu instid0(VALU_DEP_1) | instskip(SKIP_1) | instid1(VALU_DEP_1)
	v_fma_f64 v[98:99], v[90:91], v[94:95], -v[2:3]
	v_mul_f64 v[2:3], v[90:91], v[96:97]
	v_fma_f64 v[100:101], v[92:93], v[94:95], v[2:3]
	v_add_co_u32 v2, s0, 0x4000, v76
	s_delay_alu instid0(VALU_DEP_1)
	v_add_co_ci_u32_e64 v3, s0, 0, v77, s0
	ds_load_b128 v[90:93], v234 offset:16640
	global_load_b128 v[94:97], v[2:3], off offset:256
	ds_store_b128 v234, v[98:101] offset:5824
	s_waitcnt vmcnt(0) lgkmcnt(1)
	v_mul_f64 v[6:7], v[92:93], v[96:97]
	s_delay_alu instid0(VALU_DEP_1) | instskip(SKIP_1) | instid1(VALU_DEP_1)
	v_fma_f64 v[98:99], v[90:91], v[94:95], -v[6:7]
	v_mul_f64 v[6:7], v[90:91], v[96:97]
	v_fma_f64 v[100:101], v[92:93], v[94:95], v[6:7]
	global_load_b128 v[94:97], v[4:5], off offset:2560
	ds_load_b128 v[90:93], v234 offset:6656
	ds_store_b128 v234, v[98:101] offset:16640
	s_waitcnt vmcnt(0) lgkmcnt(1)
	v_mul_f64 v[6:7], v[92:93], v[96:97]
	s_delay_alu instid0(VALU_DEP_1) | instskip(SKIP_1) | instid1(VALU_DEP_1)
	v_fma_f64 v[98:99], v[90:91], v[94:95], -v[6:7]
	v_mul_f64 v[6:7], v[90:91], v[96:97]
	v_fma_f64 v[100:101], v[92:93], v[94:95], v[6:7]
	global_load_b128 v[94:97], v[2:3], off offset:1088
	ds_load_b128 v[90:93], v234 offset:17472
	;; [unrolled: 9-line block ×9, first 2 shown]
	s_waitcnt vmcnt(0) lgkmcnt(0)
	v_mul_f64 v[4:5], v[92:93], v[2:3]
	v_mul_f64 v[2:3], v[90:91], v[2:3]
	s_delay_alu instid0(VALU_DEP_2) | instskip(SKIP_1) | instid1(VALU_DEP_1)
	v_fma_f64 v[94:95], v[90:91], v[0:1], -v[4:5]
	v_add_co_u32 v4, s0, 0x5000, v76
	v_add_co_ci_u32_e64 v5, s0, 0, v77, s0
	s_delay_alu instid0(VALU_DEP_4)
	v_fma_f64 v[96:97], v[92:93], v[0:1], v[2:3]
	ds_load_b128 v[0:3], v234 offset:20800
	ds_store_b128 v234, v[98:101] offset:19968
	global_load_b128 v[90:93], v[4:5], off offset:320
	s_mov_b32 s0, s8
	ds_store_b128 v234, v[94:97] offset:9984
	s_waitcnt vmcnt(0) lgkmcnt(2)
	v_mul_f64 v[4:5], v[2:3], v[92:93]
	s_delay_alu instid0(VALU_DEP_1) | instskip(SKIP_1) | instid1(VALU_DEP_1)
	v_fma_f64 v[94:95], v[0:1], v[90:91], -v[4:5]
	v_mul_f64 v[0:1], v[0:1], v[92:93]
	v_fma_f64 v[96:97], v[2:3], v[90:91], v[0:1]
	ds_store_b128 v234, v[94:97] offset:20800
	s_waitcnt lgkmcnt(0)
	s_waitcnt_vscnt null, 0x0
	s_barrier
	buffer_gl0_inv
	ds_load_b128 v[0:3], v234
	ds_load_b128 v[90:93], v234 offset:10816
	ds_load_b128 v[94:97], v234 offset:832
	;; [unrolled: 1-line block ×25, first 2 shown]
	s_waitcnt lgkmcnt(24)
	v_add_f64 v[90:91], v[0:1], -v[90:91]
	v_add_f64 v[92:93], v[2:3], -v[92:93]
	s_waitcnt lgkmcnt(22)
	v_add_f64 v[98:99], v[94:95], -v[98:99]
	v_add_f64 v[100:101], v[96:97], -v[100:101]
	;; [unrolled: 3-line block ×13, first 2 shown]
	s_barrier
	buffer_gl0_inv
	v_fma_f64 v[0:1], v[0:1], 2.0, -v[90:91]
	v_fma_f64 v[2:3], v[2:3], 2.0, -v[92:93]
	;; [unrolled: 1-line block ×26, first 2 shown]
	ds_store_b128 v244, v[0:3]
	ds_store_b128 v244, v[90:93] offset:16
	ds_store_b128 v243, v[94:97]
	ds_store_b128 v243, v[98:101] offset:16
	;; [unrolled: 2-line block ×13, first 2 shown]
	s_waitcnt lgkmcnt(0)
	s_barrier
	buffer_gl0_inv
	ds_load_b128 v[0:3], v234
	ds_load_b128 v[80:83], v234 offset:1664
	ds_load_b128 v[88:91], v234 offset:3328
	;; [unrolled: 1-line block ×25, first 2 shown]
	s_waitcnt lgkmcnt(23)
	v_mul_f64 v[22:23], v[114:115], v[90:91]
	v_mul_f64 v[160:161], v[134:135], v[82:83]
	s_waitcnt lgkmcnt(0)
	s_barrier
	buffer_gl0_inv
	v_fma_f64 v[200:201], v[112:113], v[88:89], v[22:23]
	v_mul_f64 v[22:23], v[114:115], v[88:89]
	v_fma_f64 v[232:233], v[132:133], v[80:81], v[160:161]
	v_mul_f64 v[80:81], v[134:135], v[80:81]
	s_delay_alu instid0(VALU_DEP_3) | instskip(SKIP_1) | instid1(VALU_DEP_3)
	v_fma_f64 v[198:199], v[112:113], v[90:91], -v[22:23]
	v_mul_f64 v[22:23], v[110:111], v[94:95]
	v_fma_f64 v[20:21], v[132:133], v[82:83], -v[80:81]
	v_mul_f64 v[80:81], v[130:131], v[210:211]
	v_mul_f64 v[82:83], v[126:127], v[243:244]
	s_delay_alu instid0(VALU_DEP_4) | instskip(SKIP_2) | instid1(VALU_DEP_4)
	v_fma_f64 v[194:195], v[108:109], v[92:93], v[22:23]
	v_mul_f64 v[22:23], v[110:111], v[92:93]
	v_mul_f64 v[92:93], v[122:123], v[249:250]
	v_fma_f64 v[82:83], v[124:125], v[245:246], -v[82:83]
	s_delay_alu instid0(VALU_DEP_3) | instskip(SKIP_3) | instid1(VALU_DEP_3)
	v_fma_f64 v[190:191], v[108:109], v[94:95], -v[22:23]
	v_mul_f64 v[22:23], v[106:107], v[98:99]
	v_mul_f64 v[94:95], v[122:123], v[247:248]
	v_fma_f64 v[92:93], v[120:121], v[247:248], v[92:93]
	v_fma_f64 v[186:187], v[104:105], v[96:97], v[22:23]
	v_mul_f64 v[22:23], v[106:107], v[96:97]
	s_delay_alu instid0(VALU_DEP_4) | instskip(NEXT) | instid1(VALU_DEP_2)
	v_fma_f64 v[94:95], v[120:121], v[249:250], -v[94:95]
	v_fma_f64 v[182:183], v[104:105], v[98:99], -v[22:23]
	v_mul_f64 v[22:23], v[146:147], v[102:103]
	s_delay_alu instid0(VALU_DEP_1) | instskip(SKIP_2) | instid1(VALU_DEP_2)
	v_fma_f64 v[178:179], v[144:145], v[100:101], v[22:23]
	v_mul_f64 v[22:23], v[146:147], v[100:101]
	v_mul_f64 v[100:101], v[118:119], v[6:7]
	v_fma_f64 v[164:165], v[144:145], v[102:103], -v[22:23]
	v_mul_f64 v[22:23], v[126:127], v[154:155]
	s_delay_alu instid0(VALU_DEP_3) | instskip(SKIP_1) | instid1(VALU_DEP_3)
	v_fma_f64 v[100:101], v[116:117], v[4:5], v[100:101]
	v_mul_f64 v[4:5], v[118:119], v[4:5]
	v_fma_f64 v[160:161], v[124:125], v[152:153], v[22:23]
	v_mul_f64 v[22:23], v[126:127], v[152:153]
	s_delay_alu instid0(VALU_DEP_3) | instskip(SKIP_2) | instid1(VALU_DEP_4)
	v_fma_f64 v[102:103], v[116:117], v[6:7], -v[4:5]
	v_mul_f64 v[4:5], v[150:151], v[10:11]
	v_add_f64 v[6:7], v[2:3], v[20:21]
	v_fma_f64 v[88:89], v[124:125], v[154:155], -v[22:23]
	v_mul_f64 v[22:23], v[122:123], v[158:159]
	s_delay_alu instid0(VALU_DEP_3) | instskip(NEXT) | instid1(VALU_DEP_2)
	v_add_f64 v[6:7], v[6:7], v[198:199]
	v_fma_f64 v[162:163], v[120:121], v[156:157], v[22:23]
	v_mul_f64 v[22:23], v[122:123], v[156:157]
	v_fma_f64 v[156:157], v[148:149], v[8:9], v[4:5]
	v_mul_f64 v[4:5], v[150:151], v[8:9]
	v_add_f64 v[6:7], v[6:7], v[190:191]
	s_delay_alu instid0(VALU_DEP_4) | instskip(SKIP_1) | instid1(VALU_DEP_3)
	v_fma_f64 v[90:91], v[120:121], v[158:159], -v[22:23]
	v_mul_f64 v[22:23], v[118:119], v[168:169]
	v_add_f64 v[6:7], v[6:7], v[182:183]
	s_delay_alu instid0(VALU_DEP_2) | instskip(SKIP_1) | instid1(VALU_DEP_3)
	v_fma_f64 v[180:181], v[116:117], v[166:167], v[22:23]
	v_mul_f64 v[22:23], v[118:119], v[166:167]
	v_add_f64 v[6:7], v[6:7], v[164:165]
	s_delay_alu instid0(VALU_DEP_2) | instskip(SKIP_1) | instid1(VALU_DEP_3)
	v_fma_f64 v[166:167], v[116:117], v[168:169], -v[22:23]
	v_mul_f64 v[22:23], v[150:151], v[172:173]
	v_add_f64 v[6:7], v[6:7], v[88:89]
	s_delay_alu instid0(VALU_DEP_2) | instskip(SKIP_1) | instid1(VALU_DEP_3)
	v_fma_f64 v[188:189], v[148:149], v[170:171], v[22:23]
	v_mul_f64 v[22:23], v[150:151], v[170:171]
	v_add_f64 v[6:7], v[6:7], v[90:91]
	s_delay_alu instid0(VALU_DEP_2) | instskip(SKIP_4) | instid1(VALU_DEP_3)
	v_fma_f64 v[184:185], v[148:149], v[172:173], -v[22:23]
	v_fma_f64 v[148:149], v[148:149], v[10:11], -v[4:5]
	v_mul_f64 v[4:5], v[142:143], v[14:15]
	v_mul_f64 v[22:23], v[142:143], v[176:177]
	v_add_f64 v[6:7], v[6:7], v[166:167]
	v_fma_f64 v[150:151], v[140:141], v[12:13], v[4:5]
	v_mul_f64 v[4:5], v[142:143], v[12:13]
	s_delay_alu instid0(VALU_DEP_4) | instskip(SKIP_2) | instid1(VALU_DEP_4)
	v_fma_f64 v[196:197], v[140:141], v[174:175], v[22:23]
	v_mul_f64 v[22:23], v[142:143], v[174:175]
	v_add_f64 v[6:7], v[6:7], v[184:185]
	v_fma_f64 v[254:255], v[140:141], v[14:15], -v[4:5]
	v_mul_f64 v[4:5], v[138:139], v[18:19]
	s_delay_alu instid0(VALU_DEP_4) | instskip(SKIP_1) | instid1(VALU_DEP_3)
	v_fma_f64 v[192:193], v[140:141], v[176:177], -v[22:23]
	v_mul_f64 v[22:23], v[138:139], v[208:209]
	v_fma_f64 v[172:173], v[136:137], v[16:17], v[4:5]
	v_mul_f64 v[4:5], v[138:139], v[16:17]
	s_delay_alu instid0(VALU_DEP_3)
	v_fma_f64 v[204:205], v[136:137], v[206:207], v[22:23]
	v_mul_f64 v[22:23], v[138:139], v[206:207]
	v_fma_f64 v[206:207], v[128:129], v[212:213], -v[80:81]
	v_mul_f64 v[80:81], v[134:135], v[216:217]
	v_add_f64 v[6:7], v[6:7], v[192:193]
	v_fma_f64 v[174:175], v[136:137], v[18:19], -v[4:5]
	v_mul_f64 v[4:5], v[130:131], v[78:79]
	v_fma_f64 v[202:203], v[136:137], v[208:209], -v[22:23]
	v_mul_f64 v[22:23], v[130:131], v[212:213]
	v_fma_f64 v[168:169], v[132:133], v[214:215], v[80:81]
	v_mul_f64 v[80:81], v[134:135], v[214:215]
	v_fma_f64 v[176:177], v[128:129], v[76:77], v[4:5]
	v_mul_f64 v[4:5], v[130:131], v[76:77]
	v_add_f64 v[6:7], v[6:7], v[202:203]
	v_fma_f64 v[22:23], v[128:129], v[210:211], v[22:23]
	v_fma_f64 v[170:171], v[132:133], v[216:217], -v[80:81]
	v_mul_f64 v[80:81], v[114:115], v[220:221]
	v_fma_f64 v[76:77], v[128:129], v[78:79], -v[4:5]
	v_add_f64 v[4:5], v[0:1], v[232:233]
	v_add_f64 v[78:79], v[232:233], -v[22:23]
	s_delay_alu instid0(VALU_DEP_4) | instskip(SKIP_1) | instid1(VALU_DEP_4)
	v_fma_f64 v[222:223], v[112:113], v[218:219], v[80:81]
	v_mul_f64 v[80:81], v[114:115], v[218:219]
	v_add_f64 v[4:5], v[4:5], v[200:201]
	s_delay_alu instid0(VALU_DEP_2) | instskip(SKIP_1) | instid1(VALU_DEP_3)
	v_fma_f64 v[252:253], v[112:113], v[220:221], -v[80:81]
	v_mul_f64 v[80:81], v[110:111], v[226:227]
	v_add_f64 v[4:5], v[4:5], v[194:195]
	s_delay_alu instid0(VALU_DEP_2) | instskip(SKIP_1) | instid1(VALU_DEP_3)
	v_fma_f64 v[158:159], v[108:109], v[224:225], v[80:81]
	v_mul_f64 v[80:81], v[110:111], v[224:225]
	v_add_f64 v[4:5], v[4:5], v[186:187]
	s_delay_alu instid0(VALU_DEP_2) | instskip(SKIP_2) | instid1(VALU_DEP_4)
	v_fma_f64 v[220:221], v[108:109], v[226:227], -v[80:81]
	v_mul_f64 v[80:81], v[106:107], v[230:231]
	v_add_f64 v[108:109], v[232:233], v[22:23]
	v_add_f64 v[4:5], v[4:5], v[178:179]
	s_delay_alu instid0(VALU_DEP_3) | instskip(SKIP_4) | instid1(VALU_DEP_4)
	v_fma_f64 v[152:153], v[104:105], v[228:229], v[80:81]
	v_mul_f64 v[80:81], v[106:107], v[228:229]
	v_add_f64 v[106:107], v[6:7], v[206:207]
	v_add_f64 v[6:7], v[20:21], -v[206:207]
	v_add_f64 v[4:5], v[4:5], v[160:161]
	v_fma_f64 v[154:155], v[104:105], v[230:231], -v[80:81]
	v_mul_f64 v[80:81], v[146:147], v[241:242]
	s_delay_alu instid0(VALU_DEP_4)
	v_mul_f64 v[8:9], v[6:7], s[26:27]
	v_mul_f64 v[16:17], v[6:7], s[8:9]
	;; [unrolled: 1-line block ×3, first 2 shown]
	v_add_f64 v[4:5], v[4:5], v[162:163]
	v_fma_f64 v[96:97], v[144:145], v[239:240], v[80:81]
	v_fma_f64 v[10:11], v[108:109], s[20:21], v[8:9]
	v_fma_f64 v[8:9], v[108:109], s[20:21], -v[8:9]
	v_mul_f64 v[80:81], v[146:147], v[239:240]
	v_fma_f64 v[18:19], v[108:109], s[2:3], v[16:17]
	v_fma_f64 v[16:17], v[108:109], s[2:3], -v[16:17]
	v_fma_f64 v[120:121], v[108:109], s[24:25], v[118:119]
	v_fma_f64 v[118:119], v[108:109], s[24:25], -v[118:119]
	v_add_f64 v[4:5], v[4:5], v[180:181]
	v_add_f64 v[116:117], v[0:1], v[10:11]
	;; [unrolled: 1-line block ×3, first 2 shown]
	v_fma_f64 v[98:99], v[144:145], v[241:242], -v[80:81]
	v_mul_f64 v[80:81], v[126:127], v[245:246]
	v_mul_f64 v[126:127], v[6:7], s[30:31]
	v_add_f64 v[18:19], v[0:1], v[18:19]
	v_add_f64 v[16:17], v[0:1], v[16:17]
	;; [unrolled: 1-line block ×5, first 2 shown]
	v_fma_f64 v[80:81], v[124:125], v[243:244], v[80:81]
	v_fma_f64 v[128:129], v[108:109], s[34:35], v[126:127]
	v_fma_f64 v[126:127], v[108:109], s[34:35], -v[126:127]
	s_delay_alu instid0(VALU_DEP_4) | instskip(NEXT) | instid1(VALU_DEP_3)
	v_add_f64 v[4:5], v[4:5], v[196:197]
	v_add_f64 v[128:129], v[0:1], v[128:129]
	s_delay_alu instid0(VALU_DEP_3) | instskip(NEXT) | instid1(VALU_DEP_3)
	v_add_f64 v[126:127], v[0:1], v[126:127]
	v_add_f64 v[4:5], v[4:5], v[204:205]
	s_delay_alu instid0(VALU_DEP_1) | instskip(SKIP_1) | instid1(VALU_DEP_1)
	v_add_f64 v[104:105], v[4:5], v[22:23]
	v_add_f64 v[4:5], v[20:21], v[206:207]
	v_mul_f64 v[10:11], v[4:5], s[20:21]
	v_mul_f64 v[20:21], v[4:5], s[2:3]
	;; [unrolled: 1-line block ×4, first 2 shown]
	s_delay_alu instid0(VALU_DEP_4)
	v_fma_f64 v[12:13], v[78:79], s[22:23], v[10:11]
	v_fma_f64 v[8:9], v[78:79], s[26:27], v[10:11]
	;; [unrolled: 1-line block ×8, first 2 shown]
	v_add_f64 v[110:111], v[2:3], v[12:13]
	v_add_f64 v[114:115], v[2:3], v[8:9]
	v_mul_f64 v[8:9], v[6:7], s[10:11]
	v_mul_f64 v[12:13], v[4:5], s[14:15]
	;; [unrolled: 1-line block ×4, first 2 shown]
	v_add_f64 v[22:23], v[2:3], v[22:23]
	v_add_f64 v[20:21], v[2:3], v[20:21]
	;; [unrolled: 1-line block ×6, first 2 shown]
	v_fma_f64 v[10:11], v[108:109], s[14:15], v[8:9]
	v_fma_f64 v[14:15], v[78:79], s[16:17], v[12:13]
	v_fma_f64 v[8:9], v[108:109], s[14:15], -v[8:9]
	v_fma_f64 v[12:13], v[78:79], s[10:11], v[12:13]
	v_fma_f64 v[134:135], v[108:109], s[40:41], v[6:7]
	;; [unrolled: 1-line block ×3, first 2 shown]
	v_fma_f64 v[6:7], v[108:109], s[40:41], -v[6:7]
	v_fma_f64 v[4:5], v[78:79], s[38:39], v[4:5]
	v_add_f64 v[108:109], v[198:199], -v[202:203]
	v_add_f64 v[78:79], v[200:201], -v[204:205]
	v_add_f64 v[10:11], v[0:1], v[10:11]
	v_add_f64 v[14:15], v[2:3], v[14:15]
	;; [unrolled: 1-line block ×9, first 2 shown]
	v_mul_f64 v[138:139], v[108:109], s[10:11]
	v_add_f64 v[6:7], v[198:199], v[202:203]
	s_delay_alu instid0(VALU_DEP_2) | instskip(SKIP_1) | instid1(VALU_DEP_2)
	v_fma_f64 v[140:141], v[4:5], s[14:15], v[138:139]
	v_fma_f64 v[138:139], v[4:5], s[14:15], -v[138:139]
	v_add_f64 v[116:117], v[140:141], v[116:117]
	s_delay_alu instid0(VALU_DEP_4) | instskip(NEXT) | instid1(VALU_DEP_3)
	v_mul_f64 v[140:141], v[6:7], s[14:15]
	v_add_f64 v[112:113], v[138:139], v[112:113]
	s_delay_alu instid0(VALU_DEP_2) | instskip(SKIP_1) | instid1(VALU_DEP_2)
	v_fma_f64 v[138:139], v[78:79], s[10:11], v[140:141]
	v_fma_f64 v[142:143], v[78:79], s[16:17], v[140:141]
	v_add_f64 v[114:115], v[138:139], v[114:115]
	v_mul_f64 v[138:139], v[108:109], s[18:19]
	s_delay_alu instid0(VALU_DEP_3) | instskip(NEXT) | instid1(VALU_DEP_2)
	v_add_f64 v[110:111], v[142:143], v[110:111]
	v_fma_f64 v[140:141], v[4:5], s[24:25], v[138:139]
	v_fma_f64 v[138:139], v[4:5], s[24:25], -v[138:139]
	s_delay_alu instid0(VALU_DEP_2) | instskip(SKIP_1) | instid1(VALU_DEP_3)
	v_add_f64 v[10:11], v[140:141], v[10:11]
	v_mul_f64 v[140:141], v[6:7], s[24:25]
	v_add_f64 v[8:9], v[138:139], v[8:9]
	s_delay_alu instid0(VALU_DEP_2) | instskip(SKIP_1) | instid1(VALU_DEP_2)
	v_fma_f64 v[138:139], v[78:79], s[18:19], v[140:141]
	v_fma_f64 v[142:143], v[78:79], s[28:29], v[140:141]
	v_add_f64 v[12:13], v[138:139], v[12:13]
	v_mul_f64 v[138:139], v[108:109], s[38:39]
	s_delay_alu instid0(VALU_DEP_3) | instskip(NEXT) | instid1(VALU_DEP_2)
	v_add_f64 v[14:15], v[142:143], v[14:15]
	v_fma_f64 v[140:141], v[4:5], s[40:41], v[138:139]
	v_fma_f64 v[138:139], v[4:5], s[40:41], -v[138:139]
	s_delay_alu instid0(VALU_DEP_2) | instskip(SKIP_1) | instid1(VALU_DEP_3)
	v_add_f64 v[18:19], v[140:141], v[18:19]
	;; [unrolled: 13-line block ×3, first 2 shown]
	v_mul_f64 v[140:141], v[6:7], s[34:35]
	v_add_f64 v[118:119], v[138:139], v[118:119]
	s_delay_alu instid0(VALU_DEP_2) | instskip(SKIP_1) | instid1(VALU_DEP_2)
	v_fma_f64 v[138:139], v[78:79], s[36:37], v[140:141]
	v_fma_f64 v[142:143], v[78:79], s[30:31], v[140:141]
	v_add_f64 v[122:123], v[138:139], v[122:123]
	v_mul_f64 v[138:139], v[108:109], s[0:1]
	v_mul_f64 v[108:109], v[108:109], s[22:23]
	s_delay_alu instid0(VALU_DEP_4) | instskip(NEXT) | instid1(VALU_DEP_3)
	v_add_f64 v[124:125], v[142:143], v[124:125]
	v_fma_f64 v[140:141], v[4:5], s[2:3], v[138:139]
	v_fma_f64 v[138:139], v[4:5], s[2:3], -v[138:139]
	s_delay_alu instid0(VALU_DEP_2) | instskip(SKIP_1) | instid1(VALU_DEP_3)
	v_add_f64 v[128:129], v[140:141], v[128:129]
	v_mul_f64 v[140:141], v[6:7], s[2:3]
	v_add_f64 v[126:127], v[138:139], v[126:127]
	v_mul_f64 v[6:7], v[6:7], s[20:21]
	s_delay_alu instid0(VALU_DEP_3) | instskip(SKIP_1) | instid1(VALU_DEP_2)
	v_fma_f64 v[138:139], v[78:79], s[0:1], v[140:141]
	v_fma_f64 v[142:143], v[78:79], s[8:9], v[140:141]
	v_add_f64 v[130:131], v[138:139], v[130:131]
	v_fma_f64 v[138:139], v[4:5], s[20:21], v[108:109]
	v_fma_f64 v[4:5], v[4:5], s[20:21], -v[108:109]
	v_add_f64 v[108:109], v[190:191], -v[192:193]
	v_add_f64 v[132:133], v[142:143], v[132:133]
	s_delay_alu instid0(VALU_DEP_4)
	v_add_f64 v[134:135], v[138:139], v[134:135]
	v_fma_f64 v[138:139], v[78:79], s[26:27], v[6:7]
	v_add_f64 v[0:1], v[4:5], v[0:1]
	v_fma_f64 v[4:5], v[78:79], s[22:23], v[6:7]
	v_add_f64 v[6:7], v[190:191], v[192:193]
	v_add_f64 v[78:79], v[194:195], -v[196:197]
	v_add_f64 v[136:137], v[138:139], v[136:137]
	v_mul_f64 v[138:139], v[108:109], s[8:9]
	v_add_f64 v[2:3], v[4:5], v[2:3]
	v_add_f64 v[4:5], v[194:195], v[196:197]
	s_delay_alu instid0(VALU_DEP_1) | instskip(SKIP_1) | instid1(VALU_DEP_2)
	v_fma_f64 v[140:141], v[4:5], s[2:3], v[138:139]
	v_fma_f64 v[138:139], v[4:5], s[2:3], -v[138:139]
	v_add_f64 v[116:117], v[140:141], v[116:117]
	v_mul_f64 v[140:141], v[6:7], s[2:3]
	s_delay_alu instid0(VALU_DEP_3) | instskip(NEXT) | instid1(VALU_DEP_2)
	v_add_f64 v[112:113], v[138:139], v[112:113]
	v_fma_f64 v[138:139], v[78:79], s[8:9], v[140:141]
	v_fma_f64 v[142:143], v[78:79], s[0:1], v[140:141]
	s_delay_alu instid0(VALU_DEP_2) | instskip(SKIP_1) | instid1(VALU_DEP_3)
	v_add_f64 v[114:115], v[138:139], v[114:115]
	v_mul_f64 v[138:139], v[108:109], s[38:39]
	v_add_f64 v[110:111], v[142:143], v[110:111]
	s_delay_alu instid0(VALU_DEP_2) | instskip(SKIP_1) | instid1(VALU_DEP_2)
	v_fma_f64 v[140:141], v[4:5], s[40:41], v[138:139]
	v_fma_f64 v[138:139], v[4:5], s[40:41], -v[138:139]
	v_add_f64 v[10:11], v[140:141], v[10:11]
	v_mul_f64 v[140:141], v[6:7], s[40:41]
	s_delay_alu instid0(VALU_DEP_3) | instskip(NEXT) | instid1(VALU_DEP_2)
	v_add_f64 v[8:9], v[138:139], v[8:9]
	v_fma_f64 v[138:139], v[78:79], s[38:39], v[140:141]
	v_fma_f64 v[142:143], v[78:79], s[42:43], v[140:141]
	s_delay_alu instid0(VALU_DEP_2) | instskip(SKIP_1) | instid1(VALU_DEP_3)
	v_add_f64 v[12:13], v[138:139], v[12:13]
	v_mul_f64 v[138:139], v[108:109], s[28:29]
	v_add_f64 v[14:15], v[142:143], v[14:15]
	s_delay_alu instid0(VALU_DEP_2) | instskip(SKIP_1) | instid1(VALU_DEP_2)
	;; [unrolled: 13-line block ×3, first 2 shown]
	v_fma_f64 v[140:141], v[4:5], s[20:21], v[138:139]
	v_fma_f64 v[138:139], v[4:5], s[20:21], -v[138:139]
	v_add_f64 v[120:121], v[140:141], v[120:121]
	v_mul_f64 v[140:141], v[6:7], s[20:21]
	s_delay_alu instid0(VALU_DEP_3) | instskip(NEXT) | instid1(VALU_DEP_2)
	v_add_f64 v[118:119], v[138:139], v[118:119]
	v_fma_f64 v[138:139], v[78:79], s[22:23], v[140:141]
	v_fma_f64 v[142:143], v[78:79], s[26:27], v[140:141]
	s_delay_alu instid0(VALU_DEP_2) | instskip(SKIP_2) | instid1(VALU_DEP_4)
	v_add_f64 v[122:123], v[138:139], v[122:123]
	v_mul_f64 v[138:139], v[108:109], s[10:11]
	v_mul_f64 v[108:109], v[108:109], s[30:31]
	v_add_f64 v[124:125], v[142:143], v[124:125]
	s_delay_alu instid0(VALU_DEP_3) | instskip(SKIP_1) | instid1(VALU_DEP_2)
	v_fma_f64 v[140:141], v[4:5], s[14:15], v[138:139]
	v_fma_f64 v[138:139], v[4:5], s[14:15], -v[138:139]
	v_add_f64 v[128:129], v[140:141], v[128:129]
	v_mul_f64 v[140:141], v[6:7], s[14:15]
	s_delay_alu instid0(VALU_DEP_3) | instskip(SKIP_1) | instid1(VALU_DEP_3)
	v_add_f64 v[126:127], v[138:139], v[126:127]
	v_mul_f64 v[6:7], v[6:7], s[34:35]
	v_fma_f64 v[138:139], v[78:79], s[10:11], v[140:141]
	v_fma_f64 v[142:143], v[78:79], s[16:17], v[140:141]
	s_delay_alu instid0(VALU_DEP_2) | instskip(SKIP_4) | instid1(VALU_DEP_4)
	v_add_f64 v[130:131], v[138:139], v[130:131]
	v_fma_f64 v[138:139], v[4:5], s[34:35], v[108:109]
	v_fma_f64 v[4:5], v[4:5], s[34:35], -v[108:109]
	v_add_f64 v[108:109], v[182:183], -v[184:185]
	v_add_f64 v[132:133], v[142:143], v[132:133]
	v_add_f64 v[134:135], v[138:139], v[134:135]
	v_fma_f64 v[138:139], v[78:79], s[36:37], v[6:7]
	v_add_f64 v[0:1], v[4:5], v[0:1]
	v_fma_f64 v[4:5], v[78:79], s[30:31], v[6:7]
	v_add_f64 v[6:7], v[182:183], v[184:185]
	v_add_f64 v[78:79], v[186:187], -v[188:189]
	v_add_f64 v[136:137], v[138:139], v[136:137]
	v_mul_f64 v[138:139], v[108:109], s[18:19]
	v_add_f64 v[2:3], v[4:5], v[2:3]
	v_add_f64 v[4:5], v[186:187], v[188:189]
	s_delay_alu instid0(VALU_DEP_1) | instskip(SKIP_1) | instid1(VALU_DEP_2)
	v_fma_f64 v[140:141], v[4:5], s[24:25], v[138:139]
	v_fma_f64 v[138:139], v[4:5], s[24:25], -v[138:139]
	v_add_f64 v[116:117], v[140:141], v[116:117]
	v_mul_f64 v[140:141], v[6:7], s[24:25]
	s_delay_alu instid0(VALU_DEP_3) | instskip(NEXT) | instid1(VALU_DEP_2)
	v_add_f64 v[112:113], v[138:139], v[112:113]
	v_fma_f64 v[138:139], v[78:79], s[18:19], v[140:141]
	v_fma_f64 v[142:143], v[78:79], s[28:29], v[140:141]
	s_delay_alu instid0(VALU_DEP_2) | instskip(SKIP_1) | instid1(VALU_DEP_3)
	v_add_f64 v[114:115], v[138:139], v[114:115]
	v_mul_f64 v[138:139], v[108:109], s[36:37]
	v_add_f64 v[110:111], v[142:143], v[110:111]
	s_delay_alu instid0(VALU_DEP_2) | instskip(SKIP_1) | instid1(VALU_DEP_2)
	v_fma_f64 v[140:141], v[4:5], s[34:35], v[138:139]
	v_fma_f64 v[138:139], v[4:5], s[34:35], -v[138:139]
	v_add_f64 v[10:11], v[140:141], v[10:11]
	v_mul_f64 v[140:141], v[6:7], s[34:35]
	s_delay_alu instid0(VALU_DEP_3) | instskip(NEXT) | instid1(VALU_DEP_2)
	v_add_f64 v[8:9], v[138:139], v[8:9]
	v_fma_f64 v[138:139], v[78:79], s[36:37], v[140:141]
	v_fma_f64 v[142:143], v[78:79], s[30:31], v[140:141]
	s_delay_alu instid0(VALU_DEP_2) | instskip(SKIP_1) | instid1(VALU_DEP_3)
	v_add_f64 v[12:13], v[138:139], v[12:13]
	v_mul_f64 v[138:139], v[108:109], s[22:23]
	v_add_f64 v[14:15], v[142:143], v[14:15]
	s_delay_alu instid0(VALU_DEP_2) | instskip(SKIP_1) | instid1(VALU_DEP_2)
	;; [unrolled: 13-line block ×3, first 2 shown]
	v_fma_f64 v[140:141], v[4:5], s[2:3], v[138:139]
	v_fma_f64 v[138:139], v[4:5], s[2:3], -v[138:139]
	v_add_f64 v[120:121], v[140:141], v[120:121]
	v_mul_f64 v[140:141], v[6:7], s[2:3]
	s_delay_alu instid0(VALU_DEP_3) | instskip(NEXT) | instid1(VALU_DEP_2)
	v_add_f64 v[118:119], v[138:139], v[118:119]
	v_fma_f64 v[138:139], v[78:79], s[8:9], v[140:141]
	v_fma_f64 v[142:143], v[78:79], s[0:1], v[140:141]
	s_delay_alu instid0(VALU_DEP_2) | instskip(SKIP_2) | instid1(VALU_DEP_4)
	v_add_f64 v[122:123], v[138:139], v[122:123]
	v_mul_f64 v[138:139], v[108:109], s[42:43]
	v_mul_f64 v[108:109], v[108:109], s[16:17]
	v_add_f64 v[124:125], v[142:143], v[124:125]
	s_delay_alu instid0(VALU_DEP_3) | instskip(SKIP_1) | instid1(VALU_DEP_2)
	v_fma_f64 v[140:141], v[4:5], s[40:41], v[138:139]
	v_fma_f64 v[138:139], v[4:5], s[40:41], -v[138:139]
	v_add_f64 v[128:129], v[140:141], v[128:129]
	v_mul_f64 v[140:141], v[6:7], s[40:41]
	s_delay_alu instid0(VALU_DEP_3) | instskip(SKIP_1) | instid1(VALU_DEP_3)
	v_add_f64 v[126:127], v[138:139], v[126:127]
	v_mul_f64 v[6:7], v[6:7], s[14:15]
	v_fma_f64 v[138:139], v[78:79], s[42:43], v[140:141]
	v_fma_f64 v[142:143], v[78:79], s[38:39], v[140:141]
	s_delay_alu instid0(VALU_DEP_2) | instskip(SKIP_4) | instid1(VALU_DEP_4)
	v_add_f64 v[130:131], v[138:139], v[130:131]
	v_fma_f64 v[138:139], v[4:5], s[14:15], v[108:109]
	v_fma_f64 v[4:5], v[4:5], s[14:15], -v[108:109]
	v_add_f64 v[108:109], v[164:165], -v[166:167]
	v_add_f64 v[132:133], v[142:143], v[132:133]
	v_add_f64 v[134:135], v[138:139], v[134:135]
	v_fma_f64 v[138:139], v[78:79], s[10:11], v[6:7]
	v_add_f64 v[0:1], v[4:5], v[0:1]
	v_fma_f64 v[4:5], v[78:79], s[16:17], v[6:7]
	v_add_f64 v[6:7], v[164:165], v[166:167]
	v_add_f64 v[78:79], v[178:179], -v[180:181]
	v_add_f64 v[166:167], v[88:89], v[90:91]
	v_add_f64 v[136:137], v[138:139], v[136:137]
	v_mul_f64 v[138:139], v[108:109], s[30:31]
	v_add_f64 v[4:5], v[4:5], v[2:3]
	v_add_f64 v[2:3], v[178:179], v[180:181]
	s_delay_alu instid0(VALU_DEP_1) | instskip(SKIP_1) | instid1(VALU_DEP_2)
	v_fma_f64 v[140:141], v[2:3], s[34:35], v[138:139]
	v_fma_f64 v[138:139], v[2:3], s[34:35], -v[138:139]
	v_add_f64 v[116:117], v[140:141], v[116:117]
	v_mul_f64 v[140:141], v[6:7], s[34:35]
	s_delay_alu instid0(VALU_DEP_3) | instskip(NEXT) | instid1(VALU_DEP_2)
	v_add_f64 v[138:139], v[138:139], v[112:113]
	v_fma_f64 v[112:113], v[78:79], s[30:31], v[140:141]
	v_fma_f64 v[142:143], v[78:79], s[36:37], v[140:141]
	s_delay_alu instid0(VALU_DEP_2) | instskip(SKIP_1) | instid1(VALU_DEP_3)
	v_add_f64 v[140:141], v[112:113], v[114:115]
	v_mul_f64 v[112:113], v[108:109], s[0:1]
	v_add_f64 v[110:111], v[142:143], v[110:111]
	s_delay_alu instid0(VALU_DEP_2) | instskip(SKIP_1) | instid1(VALU_DEP_2)
	v_fma_f64 v[114:115], v[2:3], s[2:3], v[112:113]
	v_fma_f64 v[112:113], v[2:3], s[2:3], -v[112:113]
	v_add_f64 v[10:11], v[114:115], v[10:11]
	v_mul_f64 v[114:115], v[6:7], s[2:3]
	s_delay_alu instid0(VALU_DEP_3) | instskip(NEXT) | instid1(VALU_DEP_2)
	v_add_f64 v[8:9], v[112:113], v[8:9]
	v_fma_f64 v[112:113], v[78:79], s[0:1], v[114:115]
	v_fma_f64 v[142:143], v[78:79], s[8:9], v[114:115]
	s_delay_alu instid0(VALU_DEP_2) | instskip(SKIP_1) | instid1(VALU_DEP_3)
	v_add_f64 v[12:13], v[112:113], v[12:13]
	v_mul_f64 v[112:113], v[108:109], s[10:11]
	v_add_f64 v[14:15], v[142:143], v[14:15]
	s_delay_alu instid0(VALU_DEP_2) | instskip(SKIP_1) | instid1(VALU_DEP_2)
	;; [unrolled: 13-line block ×3, first 2 shown]
	v_fma_f64 v[114:115], v[2:3], s[40:41], v[112:113]
	v_fma_f64 v[112:113], v[2:3], s[40:41], -v[112:113]
	v_add_f64 v[142:143], v[114:115], v[120:121]
	v_mul_f64 v[114:115], v[6:7], s[40:41]
	s_delay_alu instid0(VALU_DEP_3) | instskip(NEXT) | instid1(VALU_DEP_2)
	v_add_f64 v[184:185], v[112:113], v[118:119]
	v_fma_f64 v[112:113], v[78:79], s[42:43], v[114:115]
	v_fma_f64 v[120:121], v[78:79], s[38:39], v[114:115]
	s_delay_alu instid0(VALU_DEP_2) | instskip(SKIP_2) | instid1(VALU_DEP_4)
	v_add_f64 v[186:187], v[112:113], v[122:123]
	v_mul_f64 v[112:113], v[108:109], s[22:23]
	v_mul_f64 v[108:109], v[108:109], s[18:19]
	v_add_f64 v[182:183], v[120:121], v[124:125]
	v_add_f64 v[124:125], v[160:161], v[162:163]
	s_delay_alu instid0(VALU_DEP_4) | instskip(SKIP_1) | instid1(VALU_DEP_2)
	v_fma_f64 v[114:115], v[2:3], s[20:21], v[112:113]
	v_fma_f64 v[112:113], v[2:3], s[20:21], -v[112:113]
	v_add_f64 v[144:145], v[114:115], v[128:129]
	v_mul_f64 v[114:115], v[6:7], s[20:21]
	s_delay_alu instid0(VALU_DEP_3) | instskip(SKIP_1) | instid1(VALU_DEP_3)
	v_add_f64 v[180:181], v[112:113], v[126:127]
	v_mul_f64 v[6:7], v[6:7], s[24:25]
	v_fma_f64 v[112:113], v[78:79], s[22:23], v[114:115]
	v_fma_f64 v[118:119], v[78:79], s[26:27], v[114:115]
	s_delay_alu instid0(VALU_DEP_2) | instskip(SKIP_2) | instid1(VALU_DEP_4)
	v_add_f64 v[178:179], v[112:113], v[130:131]
	v_fma_f64 v[112:113], v[2:3], s[24:25], v[108:109]
	v_fma_f64 v[2:3], v[2:3], s[24:25], -v[108:109]
	v_add_f64 v[146:147], v[118:119], v[132:133]
	s_delay_alu instid0(VALU_DEP_3) | instskip(SKIP_1) | instid1(VALU_DEP_4)
	v_add_f64 v[164:165], v[112:113], v[134:135]
	v_fma_f64 v[112:113], v[78:79], s[28:29], v[6:7]
	v_add_f64 v[2:3], v[2:3], v[0:1]
	v_fma_f64 v[0:1], v[78:79], s[18:19], v[6:7]
	v_add_f64 v[78:79], v[160:161], -v[162:163]
	v_add_f64 v[160:161], v[88:89], -v[90:91]
	v_add_f64 v[126:127], v[112:113], v[136:137]
	s_delay_alu instid0(VALU_DEP_4) | instskip(NEXT) | instid1(VALU_DEP_3)
	v_add_f64 v[0:1], v[0:1], v[4:5]
	v_mul_f64 v[4:5], v[160:161], s[38:39]
	s_delay_alu instid0(VALU_DEP_1) | instskip(SKIP_1) | instid1(VALU_DEP_2)
	v_fma_f64 v[6:7], v[124:125], s[40:41], v[4:5]
	v_fma_f64 v[4:5], v[124:125], s[40:41], -v[4:5]
	v_add_f64 v[112:113], v[6:7], v[116:117]
	v_mul_f64 v[6:7], v[166:167], s[40:41]
	s_delay_alu instid0(VALU_DEP_3) | instskip(NEXT) | instid1(VALU_DEP_2)
	v_add_f64 v[108:109], v[4:5], v[138:139]
	v_fma_f64 v[88:89], v[78:79], s[42:43], v[6:7]
	v_fma_f64 v[4:5], v[78:79], s[38:39], v[6:7]
	s_delay_alu instid0(VALU_DEP_2) | instskip(NEXT) | instid1(VALU_DEP_2)
	v_add_f64 v[114:115], v[88:89], v[110:111]
	v_add_f64 v[110:111], v[4:5], v[140:141]
	v_mul_f64 v[4:5], v[160:161], s[22:23]
	s_delay_alu instid0(VALU_DEP_1) | instskip(SKIP_1) | instid1(VALU_DEP_2)
	v_fma_f64 v[6:7], v[124:125], s[20:21], v[4:5]
	v_fma_f64 v[4:5], v[124:125], s[20:21], -v[4:5]
	v_add_f64 v[120:121], v[6:7], v[10:11]
	v_mul_f64 v[6:7], v[166:167], s[20:21]
	s_delay_alu instid0(VALU_DEP_3) | instskip(NEXT) | instid1(VALU_DEP_2)
	v_add_f64 v[116:117], v[4:5], v[8:9]
	v_fma_f64 v[4:5], v[78:79], s[22:23], v[6:7]
	v_fma_f64 v[10:11], v[78:79], s[26:27], v[6:7]
	s_delay_alu instid0(VALU_DEP_2) | instskip(SKIP_1) | instid1(VALU_DEP_3)
	v_add_f64 v[118:119], v[4:5], v[12:13]
	v_mul_f64 v[4:5], v[160:161], s[30:31]
	v_add_f64 v[122:123], v[10:11], v[14:15]
	s_delay_alu instid0(VALU_DEP_2) | instskip(SKIP_1) | instid1(VALU_DEP_2)
	v_fma_f64 v[6:7], v[124:125], s[34:35], v[4:5]
	v_fma_f64 v[4:5], v[124:125], s[34:35], -v[4:5]
	v_add_f64 v[128:129], v[6:7], v[18:19]
	v_mul_f64 v[6:7], v[166:167], s[34:35]
	s_delay_alu instid0(VALU_DEP_3) | instskip(NEXT) | instid1(VALU_DEP_2)
	v_add_f64 v[132:133], v[4:5], v[16:17]
	v_fma_f64 v[4:5], v[78:79], s[30:31], v[6:7]
	v_fma_f64 v[8:9], v[78:79], s[36:37], v[6:7]
	s_delay_alu instid0(VALU_DEP_2) | instskip(SKIP_1) | instid1(VALU_DEP_3)
	v_add_f64 v[134:135], v[4:5], v[20:21]
	v_mul_f64 v[4:5], v[160:161], s[16:17]
	v_add_f64 v[130:131], v[8:9], v[22:23]
	s_delay_alu instid0(VALU_DEP_2) | instskip(SKIP_1) | instid1(VALU_DEP_2)
	;; [unrolled: 13-line block ×4, first 2 shown]
	v_fma_f64 v[6:7], v[124:125], s[2:3], v[4:5]
	v_fma_f64 v[4:5], v[124:125], s[2:3], -v[4:5]
	v_add_f64 v[160:161], v[6:7], v[164:165]
	v_mul_f64 v[6:7], v[166:167], s[2:3]
	s_delay_alu instid0(VALU_DEP_3) | instskip(SKIP_1) | instid1(VALU_DEP_3)
	v_add_f64 v[164:165], v[4:5], v[2:3]
	v_add_f64 v[4:5], v[168:169], -v[176:177]
	v_fma_f64 v[2:3], v[78:79], s[0:1], v[6:7]
	v_fma_f64 v[8:9], v[78:79], s[8:9], v[6:7]
	v_add_f64 v[6:7], v[170:171], -v[76:77]
	s_delay_alu instid0(VALU_DEP_3)
	v_add_f64 v[166:167], v[2:3], v[0:1]
	v_add_f64 v[2:3], v[86:87], v[170:171]
	;; [unrolled: 1-line block ×4, first 2 shown]
	v_mul_f64 v[8:9], v[6:7], s[26:27]
	v_mul_f64 v[16:17], v[6:7], s[10:11]
	;; [unrolled: 1-line block ×3, first 2 shown]
	v_add_f64 v[2:3], v[2:3], v[252:253]
	v_add_f64 v[0:1], v[0:1], v[222:223]
	s_delay_alu instid0(VALU_DEP_2) | instskip(NEXT) | instid1(VALU_DEP_2)
	v_add_f64 v[2:3], v[2:3], v[220:221]
	v_add_f64 v[0:1], v[0:1], v[158:159]
	s_delay_alu instid0(VALU_DEP_2) | instskip(NEXT) | instid1(VALU_DEP_2)
	;; [unrolled: 3-line block ×9, first 2 shown]
	v_add_f64 v[2:3], v[2:3], v[174:175]
	v_add_f64 v[0:1], v[0:1], v[172:173]
	s_delay_alu instid0(VALU_DEP_2) | instskip(SKIP_1) | instid1(VALU_DEP_3)
	v_add_f64 v[126:127], v[2:3], v[76:77]
	v_add_f64 v[2:3], v[170:171], v[76:77]
	;; [unrolled: 1-line block ×4, first 2 shown]
	v_mul_f64 v[76:77], v[6:7], s[8:9]
	v_mul_f64 v[176:177], v[6:7], s[18:19]
	;; [unrolled: 1-line block ×9, first 2 shown]
	v_fma_f64 v[10:11], v[0:1], s[20:21], v[8:9]
	v_fma_f64 v[8:9], v[0:1], s[20:21], -v[8:9]
	v_fma_f64 v[18:19], v[0:1], s[14:15], v[16:17]
	v_fma_f64 v[16:17], v[0:1], s[14:15], -v[16:17]
	;; [unrolled: 2-line block ×6, first 2 shown]
	v_add_f64 v[6:7], v[252:253], v[174:175]
	v_fma_f64 v[14:15], v[4:5], s[22:23], v[12:13]
	v_fma_f64 v[12:13], v[4:5], s[26:27], v[12:13]
	;; [unrolled: 1-line block ×12, first 2 shown]
	v_add_f64 v[10:11], v[84:85], v[10:11]
	v_add_f64 v[8:9], v[84:85], v[8:9]
	;; [unrolled: 1-line block ×13, first 2 shown]
	v_add_f64 v[84:85], v[222:223], -v[172:173]
	v_add_f64 v[14:15], v[86:87], v[14:15]
	v_add_f64 v[12:13], v[86:87], v[12:13]
	v_add_f64 v[22:23], v[86:87], v[22:23]
	v_add_f64 v[20:21], v[86:87], v[20:21]
	v_add_f64 v[170:171], v[86:87], v[170:171]
	v_add_f64 v[168:169], v[86:87], v[168:169]
	v_add_f64 v[182:183], v[86:87], v[182:183]
	v_add_f64 v[180:181], v[86:87], v[180:181]
	v_add_f64 v[190:191], v[86:87], v[190:191]
	v_add_f64 v[188:189], v[86:87], v[188:189]
	v_add_f64 v[194:195], v[86:87], v[194:195]
	v_add_f64 v[2:3], v[86:87], v[2:3]
	v_add_f64 v[86:87], v[252:253], -v[174:175]
	s_delay_alu instid0(VALU_DEP_1) | instskip(NEXT) | instid1(VALU_DEP_1)
	v_mul_f64 v[172:173], v[86:87], s[10:11]
	v_fma_f64 v[174:175], v[4:5], s[14:15], v[172:173]
	v_fma_f64 v[172:173], v[4:5], s[14:15], -v[172:173]
	s_delay_alu instid0(VALU_DEP_2) | instskip(SKIP_1) | instid1(VALU_DEP_3)
	v_add_f64 v[10:11], v[174:175], v[10:11]
	v_mul_f64 v[174:175], v[6:7], s[14:15]
	v_add_f64 v[8:9], v[172:173], v[8:9]
	s_delay_alu instid0(VALU_DEP_2) | instskip(SKIP_1) | instid1(VALU_DEP_2)
	v_fma_f64 v[172:173], v[84:85], s[10:11], v[174:175]
	v_fma_f64 v[196:197], v[84:85], s[16:17], v[174:175]
	v_add_f64 v[12:13], v[172:173], v[12:13]
	v_mul_f64 v[172:173], v[86:87], s[18:19]
	s_delay_alu instid0(VALU_DEP_3) | instskip(NEXT) | instid1(VALU_DEP_2)
	v_add_f64 v[14:15], v[196:197], v[14:15]
	v_fma_f64 v[174:175], v[4:5], s[24:25], v[172:173]
	v_fma_f64 v[172:173], v[4:5], s[24:25], -v[172:173]
	s_delay_alu instid0(VALU_DEP_2) | instskip(SKIP_1) | instid1(VALU_DEP_3)
	v_add_f64 v[18:19], v[174:175], v[18:19]
	v_mul_f64 v[174:175], v[6:7], s[24:25]
	v_add_f64 v[16:17], v[172:173], v[16:17]
	s_delay_alu instid0(VALU_DEP_2) | instskip(SKIP_1) | instid1(VALU_DEP_2)
	v_fma_f64 v[172:173], v[84:85], s[18:19], v[174:175]
	v_fma_f64 v[196:197], v[84:85], s[28:29], v[174:175]
	v_add_f64 v[20:21], v[172:173], v[20:21]
	v_mul_f64 v[172:173], v[86:87], s[38:39]
	s_delay_alu instid0(VALU_DEP_3) | instskip(NEXT) | instid1(VALU_DEP_2)
	v_add_f64 v[22:23], v[196:197], v[22:23]
	;; [unrolled: 13-line block ×3, first 2 shown]
	v_fma_f64 v[174:175], v[4:5], s[34:35], v[172:173]
	v_fma_f64 v[172:173], v[4:5], s[34:35], -v[172:173]
	s_delay_alu instid0(VALU_DEP_2) | instskip(SKIP_1) | instid1(VALU_DEP_3)
	v_add_f64 v[174:175], v[174:175], v[178:179]
	v_mul_f64 v[178:179], v[6:7], s[34:35]
	v_add_f64 v[172:173], v[172:173], v[176:177]
	s_delay_alu instid0(VALU_DEP_2) | instskip(SKIP_3) | instid1(VALU_DEP_4)
	v_fma_f64 v[196:197], v[84:85], s[30:31], v[178:179]
	v_fma_f64 v[176:177], v[84:85], s[36:37], v[178:179]
	v_mul_f64 v[178:179], v[86:87], s[0:1]
	v_mul_f64 v[86:87], v[86:87], s[22:23]
	v_add_f64 v[182:183], v[196:197], v[182:183]
	s_delay_alu instid0(VALU_DEP_4) | instskip(NEXT) | instid1(VALU_DEP_4)
	v_add_f64 v[176:177], v[176:177], v[180:181]
	v_fma_f64 v[180:181], v[4:5], s[2:3], v[178:179]
	v_fma_f64 v[178:179], v[4:5], s[2:3], -v[178:179]
	s_delay_alu instid0(VALU_DEP_2) | instskip(SKIP_1) | instid1(VALU_DEP_3)
	v_add_f64 v[180:181], v[180:181], v[186:187]
	v_mul_f64 v[186:187], v[6:7], s[2:3]
	v_add_f64 v[178:179], v[178:179], v[184:185]
	v_mul_f64 v[6:7], v[6:7], s[20:21]
	s_delay_alu instid0(VALU_DEP_3)
	v_fma_f64 v[196:197], v[84:85], s[8:9], v[186:187]
	v_fma_f64 v[184:185], v[84:85], s[0:1], v[186:187]
	;; [unrolled: 1-line block ×3, first 2 shown]
	v_fma_f64 v[4:5], v[4:5], s[20:21], -v[86:87]
	v_add_f64 v[86:87], v[220:221], -v[254:255]
	v_add_f64 v[190:191], v[196:197], v[190:191]
	v_add_f64 v[184:185], v[184:185], v[188:189]
	v_fma_f64 v[188:189], v[84:85], s[26:27], v[6:7]
	v_add_f64 v[0:1], v[4:5], v[0:1]
	v_fma_f64 v[4:5], v[84:85], s[22:23], v[6:7]
	v_add_f64 v[84:85], v[158:159], -v[150:151]
	v_add_f64 v[6:7], v[220:221], v[254:255]
	v_add_f64 v[186:187], v[186:187], v[192:193]
	;; [unrolled: 1-line block ×5, first 2 shown]
	v_mul_f64 v[150:151], v[86:87], s[8:9]
	s_delay_alu instid0(VALU_DEP_1) | instskip(SKIP_1) | instid1(VALU_DEP_2)
	v_fma_f64 v[158:159], v[4:5], s[2:3], v[150:151]
	v_fma_f64 v[150:151], v[4:5], s[2:3], -v[150:151]
	v_add_f64 v[10:11], v[158:159], v[10:11]
	v_mul_f64 v[158:159], v[6:7], s[2:3]
	s_delay_alu instid0(VALU_DEP_3) | instskip(NEXT) | instid1(VALU_DEP_2)
	v_add_f64 v[8:9], v[150:151], v[8:9]
	v_fma_f64 v[150:151], v[84:85], s[8:9], v[158:159]
	v_fma_f64 v[192:193], v[84:85], s[0:1], v[158:159]
	s_delay_alu instid0(VALU_DEP_2) | instskip(SKIP_1) | instid1(VALU_DEP_3)
	v_add_f64 v[12:13], v[150:151], v[12:13]
	v_mul_f64 v[150:151], v[86:87], s[38:39]
	v_add_f64 v[14:15], v[192:193], v[14:15]
	s_delay_alu instid0(VALU_DEP_2) | instskip(SKIP_1) | instid1(VALU_DEP_2)
	v_fma_f64 v[158:159], v[4:5], s[40:41], v[150:151]
	v_fma_f64 v[150:151], v[4:5], s[40:41], -v[150:151]
	v_add_f64 v[18:19], v[158:159], v[18:19]
	v_mul_f64 v[158:159], v[6:7], s[40:41]
	s_delay_alu instid0(VALU_DEP_3) | instskip(NEXT) | instid1(VALU_DEP_2)
	v_add_f64 v[16:17], v[150:151], v[16:17]
	v_fma_f64 v[150:151], v[84:85], s[38:39], v[158:159]
	v_fma_f64 v[192:193], v[84:85], s[42:43], v[158:159]
	s_delay_alu instid0(VALU_DEP_2) | instskip(SKIP_1) | instid1(VALU_DEP_3)
	v_add_f64 v[20:21], v[150:151], v[20:21]
	v_mul_f64 v[150:151], v[86:87], s[28:29]
	v_add_f64 v[22:23], v[192:193], v[22:23]
	s_delay_alu instid0(VALU_DEP_2) | instskip(SKIP_1) | instid1(VALU_DEP_2)
	v_fma_f64 v[158:159], v[4:5], s[24:25], v[150:151]
	v_fma_f64 v[150:151], v[4:5], s[24:25], -v[150:151]
	v_add_f64 v[78:79], v[158:159], v[78:79]
	v_mul_f64 v[158:159], v[6:7], s[24:25]
	s_delay_alu instid0(VALU_DEP_3) | instskip(NEXT) | instid1(VALU_DEP_2)
	v_add_f64 v[76:77], v[150:151], v[76:77]
	v_fma_f64 v[192:193], v[84:85], s[18:19], v[158:159]
	v_fma_f64 v[150:151], v[84:85], s[28:29], v[158:159]
	v_mul_f64 v[158:159], v[86:87], s[22:23]
	s_delay_alu instid0(VALU_DEP_3) | instskip(NEXT) | instid1(VALU_DEP_3)
	v_add_f64 v[170:171], v[192:193], v[170:171]
	v_add_f64 v[150:151], v[150:151], v[168:169]
	s_delay_alu instid0(VALU_DEP_3) | instskip(SKIP_1) | instid1(VALU_DEP_2)
	v_fma_f64 v[168:169], v[4:5], s[20:21], v[158:159]
	v_fma_f64 v[158:159], v[4:5], s[20:21], -v[158:159]
	v_add_f64 v[168:169], v[168:169], v[174:175]
	v_mul_f64 v[174:175], v[6:7], s[20:21]
	s_delay_alu instid0(VALU_DEP_3) | instskip(NEXT) | instid1(VALU_DEP_2)
	v_add_f64 v[158:159], v[158:159], v[172:173]
	v_fma_f64 v[192:193], v[84:85], s[26:27], v[174:175]
	v_fma_f64 v[172:173], v[84:85], s[22:23], v[174:175]
	v_mul_f64 v[174:175], v[86:87], s[10:11]
	v_mul_f64 v[86:87], v[86:87], s[30:31]
	s_delay_alu instid0(VALU_DEP_4) | instskip(NEXT) | instid1(VALU_DEP_4)
	v_add_f64 v[182:183], v[192:193], v[182:183]
	v_add_f64 v[172:173], v[172:173], v[176:177]
	s_delay_alu instid0(VALU_DEP_4) | instskip(SKIP_1) | instid1(VALU_DEP_2)
	v_fma_f64 v[176:177], v[4:5], s[14:15], v[174:175]
	v_fma_f64 v[174:175], v[4:5], s[14:15], -v[174:175]
	v_add_f64 v[176:177], v[176:177], v[180:181]
	v_mul_f64 v[180:181], v[6:7], s[14:15]
	s_delay_alu instid0(VALU_DEP_3) | instskip(SKIP_1) | instid1(VALU_DEP_3)
	v_add_f64 v[174:175], v[174:175], v[178:179]
	v_mul_f64 v[6:7], v[6:7], s[34:35]
	v_fma_f64 v[192:193], v[84:85], s[16:17], v[180:181]
	v_fma_f64 v[178:179], v[84:85], s[10:11], v[180:181]
	;; [unrolled: 1-line block ×3, first 2 shown]
	v_fma_f64 v[4:5], v[4:5], s[34:35], -v[86:87]
	v_add_f64 v[86:87], v[154:155], -v[148:149]
	v_add_f64 v[190:191], v[192:193], v[190:191]
	v_add_f64 v[178:179], v[178:179], v[184:185]
	v_fma_f64 v[184:185], v[84:85], s[36:37], v[6:7]
	v_add_f64 v[0:1], v[4:5], v[0:1]
	v_fma_f64 v[4:5], v[84:85], s[30:31], v[6:7]
	v_add_f64 v[6:7], v[154:155], v[148:149]
	v_mul_f64 v[148:149], v[86:87], s[18:19]
	v_add_f64 v[84:85], v[152:153], -v[156:157]
	v_add_f64 v[180:181], v[180:181], v[186:187]
	v_add_f64 v[186:187], v[82:83], -v[94:95]
	v_add_f64 v[184:185], v[184:185], v[188:189]
	v_add_f64 v[2:3], v[4:5], v[2:3]
	;; [unrolled: 1-line block ×3, first 2 shown]
	v_mul_f64 v[156:157], v[6:7], s[2:3]
	s_delay_alu instid0(VALU_DEP_2) | instskip(SKIP_1) | instid1(VALU_DEP_2)
	v_fma_f64 v[152:153], v[4:5], s[24:25], v[148:149]
	v_fma_f64 v[148:149], v[4:5], s[24:25], -v[148:149]
	v_add_f64 v[10:11], v[152:153], v[10:11]
	v_mul_f64 v[152:153], v[6:7], s[24:25]
	s_delay_alu instid0(VALU_DEP_3) | instskip(NEXT) | instid1(VALU_DEP_2)
	v_add_f64 v[8:9], v[148:149], v[8:9]
	v_fma_f64 v[148:149], v[84:85], s[18:19], v[152:153]
	v_fma_f64 v[154:155], v[84:85], s[28:29], v[152:153]
	s_delay_alu instid0(VALU_DEP_2) | instskip(SKIP_1) | instid1(VALU_DEP_3)
	v_add_f64 v[12:13], v[148:149], v[12:13]
	v_mul_f64 v[148:149], v[86:87], s[36:37]
	v_add_f64 v[14:15], v[154:155], v[14:15]
	s_delay_alu instid0(VALU_DEP_2) | instskip(SKIP_1) | instid1(VALU_DEP_2)
	v_fma_f64 v[152:153], v[4:5], s[34:35], v[148:149]
	v_fma_f64 v[148:149], v[4:5], s[34:35], -v[148:149]
	v_add_f64 v[18:19], v[152:153], v[18:19]
	v_mul_f64 v[152:153], v[6:7], s[34:35]
	s_delay_alu instid0(VALU_DEP_3) | instskip(NEXT) | instid1(VALU_DEP_2)
	v_add_f64 v[16:17], v[148:149], v[16:17]
	v_fma_f64 v[148:149], v[84:85], s[36:37], v[152:153]
	v_fma_f64 v[154:155], v[84:85], s[30:31], v[152:153]
	s_delay_alu instid0(VALU_DEP_2) | instskip(SKIP_1) | instid1(VALU_DEP_3)
	v_add_f64 v[20:21], v[148:149], v[20:21]
	v_mul_f64 v[148:149], v[86:87], s[22:23]
	v_add_f64 v[22:23], v[154:155], v[22:23]
	;; [unrolled: 13-line block ×3, first 2 shown]
	s_delay_alu instid0(VALU_DEP_2) | instskip(SKIP_1) | instid1(VALU_DEP_2)
	v_fma_f64 v[152:153], v[4:5], s[2:3], v[150:151]
	v_fma_f64 v[150:151], v[4:5], s[2:3], -v[150:151]
	v_add_f64 v[152:153], v[152:153], v[168:169]
	s_delay_alu instid0(VALU_DEP_2) | instskip(SKIP_4) | instid1(VALU_DEP_4)
	v_add_f64 v[150:151], v[150:151], v[158:159]
	v_mul_f64 v[158:159], v[86:87], s[42:43]
	v_fma_f64 v[168:169], v[84:85], s[0:1], v[156:157]
	v_fma_f64 v[156:157], v[84:85], s[8:9], v[156:157]
	v_mul_f64 v[86:87], v[86:87], s[16:17]
	v_fma_f64 v[170:171], v[4:5], s[40:41], v[158:159]
	v_fma_f64 v[158:159], v[4:5], s[40:41], -v[158:159]
	s_delay_alu instid0(VALU_DEP_4)
	v_add_f64 v[156:157], v[156:157], v[172:173]
	v_mul_f64 v[172:173], v[6:7], s[40:41]
	v_mul_f64 v[6:7], v[6:7], s[14:15]
	v_add_f64 v[168:169], v[168:169], v[182:183]
	v_add_f64 v[182:183], v[82:83], v[94:95]
	;; [unrolled: 1-line block ×4, first 2 shown]
	v_fma_f64 v[174:175], v[4:5], s[14:15], v[86:87]
	v_fma_f64 v[4:5], v[4:5], s[14:15], -v[86:87]
	v_fma_f64 v[176:177], v[84:85], s[38:39], v[172:173]
	v_fma_f64 v[172:173], v[84:85], s[42:43], v[172:173]
	v_add_f64 v[86:87], v[98:99], -v[102:103]
	v_add_f64 v[174:175], v[174:175], v[180:181]
	v_add_f64 v[0:1], v[4:5], v[0:1]
	v_fma_f64 v[4:5], v[84:85], s[16:17], v[6:7]
	v_add_f64 v[172:173], v[172:173], v[178:179]
	v_fma_f64 v[178:179], v[84:85], s[10:11], v[6:7]
	v_add_f64 v[84:85], v[96:97], -v[100:101]
	v_add_f64 v[6:7], v[98:99], v[102:103]
	v_add_f64 v[180:181], v[80:81], v[92:93]
	;; [unrolled: 1-line block ×5, first 2 shown]
	v_mul_f64 v[96:97], v[86:87], s[30:31]
	v_add_f64 v[178:179], v[178:179], v[184:185]
	v_add_f64 v[184:185], v[80:81], -v[92:93]
	s_delay_alu instid0(VALU_DEP_3) | instskip(SKIP_1) | instid1(VALU_DEP_2)
	v_fma_f64 v[98:99], v[4:5], s[34:35], v[96:97]
	v_fma_f64 v[96:97], v[4:5], s[34:35], -v[96:97]
	v_add_f64 v[10:11], v[98:99], v[10:11]
	v_mul_f64 v[98:99], v[6:7], s[34:35]
	s_delay_alu instid0(VALU_DEP_3) | instskip(NEXT) | instid1(VALU_DEP_2)
	v_add_f64 v[8:9], v[96:97], v[8:9]
	v_fma_f64 v[96:97], v[84:85], s[30:31], v[98:99]
	v_fma_f64 v[100:101], v[84:85], s[36:37], v[98:99]
	s_delay_alu instid0(VALU_DEP_2) | instskip(SKIP_1) | instid1(VALU_DEP_3)
	v_add_f64 v[12:13], v[96:97], v[12:13]
	v_mul_f64 v[96:97], v[86:87], s[0:1]
	v_add_f64 v[14:15], v[100:101], v[14:15]
	s_delay_alu instid0(VALU_DEP_2) | instskip(SKIP_1) | instid1(VALU_DEP_2)
	v_fma_f64 v[98:99], v[4:5], s[2:3], v[96:97]
	v_fma_f64 v[96:97], v[4:5], s[2:3], -v[96:97]
	v_add_f64 v[18:19], v[98:99], v[18:19]
	v_mul_f64 v[98:99], v[6:7], s[2:3]
	s_delay_alu instid0(VALU_DEP_3) | instskip(NEXT) | instid1(VALU_DEP_2)
	v_add_f64 v[16:17], v[96:97], v[16:17]
	v_fma_f64 v[96:97], v[84:85], s[0:1], v[98:99]
	v_fma_f64 v[100:101], v[84:85], s[8:9], v[98:99]
	s_delay_alu instid0(VALU_DEP_2) | instskip(SKIP_1) | instid1(VALU_DEP_3)
	v_add_f64 v[20:21], v[96:97], v[20:21]
	v_mul_f64 v[96:97], v[86:87], s[10:11]
	v_add_f64 v[22:23], v[100:101], v[22:23]
	s_delay_alu instid0(VALU_DEP_2) | instskip(SKIP_1) | instid1(VALU_DEP_2)
	v_fma_f64 v[98:99], v[4:5], s[14:15], v[96:97]
	v_fma_f64 v[96:97], v[4:5], s[14:15], -v[96:97]
	v_add_f64 v[78:79], v[98:99], v[78:79]
	v_mul_f64 v[98:99], v[6:7], s[14:15]
	s_delay_alu instid0(VALU_DEP_3) | instskip(NEXT) | instid1(VALU_DEP_2)
	v_add_f64 v[76:77], v[96:97], v[76:77]
	v_fma_f64 v[100:101], v[84:85], s[16:17], v[98:99]
	v_fma_f64 v[96:97], v[84:85], s[10:11], v[98:99]
	v_mul_f64 v[98:99], v[86:87], s[42:43]
	s_delay_alu instid0(VALU_DEP_3) | instskip(NEXT) | instid1(VALU_DEP_3)
	v_add_f64 v[154:155], v[100:101], v[154:155]
	v_add_f64 v[96:97], v[96:97], v[148:149]
	s_delay_alu instid0(VALU_DEP_3) | instskip(SKIP_1) | instid1(VALU_DEP_2)
	v_fma_f64 v[100:101], v[4:5], s[40:41], v[98:99]
	v_fma_f64 v[98:99], v[4:5], s[40:41], -v[98:99]
	v_add_f64 v[152:153], v[100:101], v[152:153]
	v_mul_f64 v[100:101], v[6:7], s[40:41]
	s_delay_alu instid0(VALU_DEP_3) | instskip(NEXT) | instid1(VALU_DEP_2)
	v_add_f64 v[98:99], v[98:99], v[150:151]
	v_fma_f64 v[102:103], v[84:85], s[38:39], v[100:101]
	v_fma_f64 v[100:101], v[84:85], s[42:43], v[100:101]
	s_delay_alu instid0(VALU_DEP_2) | instskip(NEXT) | instid1(VALU_DEP_2)
	v_add_f64 v[168:169], v[102:103], v[168:169]
	v_add_f64 v[156:157], v[100:101], v[156:157]
	v_mul_f64 v[100:101], v[86:87], s[22:23]
	v_mul_f64 v[86:87], v[86:87], s[18:19]
	s_delay_alu instid0(VALU_DEP_2) | instskip(SKIP_1) | instid1(VALU_DEP_2)
	v_fma_f64 v[102:103], v[4:5], s[20:21], v[100:101]
	v_fma_f64 v[100:101], v[4:5], s[20:21], -v[100:101]
	v_add_f64 v[170:171], v[102:103], v[170:171]
	v_mul_f64 v[102:103], v[6:7], s[20:21]
	s_delay_alu instid0(VALU_DEP_3) | instskip(SKIP_1) | instid1(VALU_DEP_3)
	v_add_f64 v[158:159], v[100:101], v[158:159]
	v_mul_f64 v[6:7], v[6:7], s[24:25]
	v_fma_f64 v[100:101], v[84:85], s[22:23], v[102:103]
	v_fma_f64 v[148:149], v[84:85], s[26:27], v[102:103]
	s_delay_alu instid0(VALU_DEP_2) | instskip(SKIP_2) | instid1(VALU_DEP_4)
	v_add_f64 v[172:173], v[100:101], v[172:173]
	v_fma_f64 v[100:101], v[4:5], s[24:25], v[86:87]
	v_fma_f64 v[4:5], v[4:5], s[24:25], -v[86:87]
	v_add_f64 v[176:177], v[148:149], v[176:177]
	s_delay_alu instid0(VALU_DEP_3) | instskip(NEXT) | instid1(VALU_DEP_3)
	v_add_f64 v[174:175], v[100:101], v[174:175]
	v_add_f64 v[4:5], v[4:5], v[0:1]
	v_fma_f64 v[0:1], v[84:85], s[18:19], v[6:7]
	v_fma_f64 v[100:101], v[84:85], s[28:29], v[6:7]
	s_delay_alu instid0(VALU_DEP_2) | instskip(SKIP_1) | instid1(VALU_DEP_3)
	v_add_f64 v[6:7], v[0:1], v[2:3]
	v_mul_f64 v[0:1], v[186:187], s[38:39]
	v_add_f64 v[178:179], v[100:101], v[178:179]
	s_delay_alu instid0(VALU_DEP_2) | instskip(SKIP_1) | instid1(VALU_DEP_2)
	v_fma_f64 v[2:3], v[180:181], s[40:41], v[0:1]
	v_fma_f64 v[0:1], v[180:181], s[40:41], -v[0:1]
	v_add_f64 v[100:101], v[2:3], v[10:11]
	v_mul_f64 v[2:3], v[182:183], s[40:41]
	s_delay_alu instid0(VALU_DEP_3) | instskip(NEXT) | instid1(VALU_DEP_2)
	v_add_f64 v[84:85], v[0:1], v[8:9]
	v_fma_f64 v[0:1], v[184:185], s[38:39], v[2:3]
	v_fma_f64 v[10:11], v[184:185], s[42:43], v[2:3]
	s_delay_alu instid0(VALU_DEP_2) | instskip(SKIP_1) | instid1(VALU_DEP_3)
	v_add_f64 v[86:87], v[0:1], v[12:13]
	v_mul_f64 v[0:1], v[186:187], s[22:23]
	v_add_f64 v[102:103], v[10:11], v[14:15]
	v_mul_f64 v[10:11], v[182:183], s[34:35]
	s_delay_alu instid0(VALU_DEP_3) | instskip(SKIP_1) | instid1(VALU_DEP_2)
	v_fma_f64 v[2:3], v[180:181], s[20:21], v[0:1]
	v_fma_f64 v[0:1], v[180:181], s[20:21], -v[0:1]
	v_add_f64 v[220:221], v[2:3], v[18:19]
	v_mul_f64 v[2:3], v[182:183], s[20:21]
	s_delay_alu instid0(VALU_DEP_3) | instskip(NEXT) | instid1(VALU_DEP_2)
	v_add_f64 v[148:149], v[0:1], v[16:17]
	v_fma_f64 v[8:9], v[184:185], s[26:27], v[2:3]
	v_fma_f64 v[0:1], v[184:185], s[22:23], v[2:3]
	;; [unrolled: 1-line block ×3, first 2 shown]
	s_delay_alu instid0(VALU_DEP_3) | instskip(SKIP_1) | instid1(VALU_DEP_4)
	v_add_f64 v[222:223], v[8:9], v[22:23]
	v_mul_f64 v[8:9], v[186:187], s[30:31]
	v_add_f64 v[150:151], v[0:1], v[20:21]
	s_delay_alu instid0(VALU_DEP_4) | instskip(NEXT) | instid1(VALU_DEP_3)
	v_add_f64 v[2:3], v[2:3], v[154:155]
	v_fma_f64 v[0:1], v[180:181], s[34:35], v[8:9]
	v_fma_f64 v[8:9], v[180:181], s[34:35], -v[8:9]
	s_delay_alu instid0(VALU_DEP_2) | instskip(NEXT) | instid1(VALU_DEP_2)
	v_add_f64 v[0:1], v[0:1], v[78:79]
	v_add_f64 v[92:93], v[8:9], v[76:77]
	v_fma_f64 v[8:9], v[184:185], s[30:31], v[10:11]
	s_delay_alu instid0(VALU_DEP_1) | instskip(SKIP_1) | instid1(VALU_DEP_1)
	v_add_f64 v[94:95], v[8:9], v[96:97]
	v_mul_f64 v[8:9], v[186:187], s[16:17]
	v_fma_f64 v[10:11], v[180:181], s[14:15], v[8:9]
	v_fma_f64 v[8:9], v[180:181], s[14:15], -v[8:9]
	s_delay_alu instid0(VALU_DEP_2) | instskip(SKIP_1) | instid1(VALU_DEP_3)
	v_add_f64 v[76:77], v[10:11], v[152:153]
	v_mul_f64 v[10:11], v[182:183], s[14:15]
	v_add_f64 v[96:97], v[8:9], v[98:99]
	s_delay_alu instid0(VALU_DEP_2) | instskip(SKIP_1) | instid1(VALU_DEP_2)
	v_fma_f64 v[8:9], v[184:185], s[16:17], v[10:11]
	v_fma_f64 v[12:13], v[184:185], s[10:11], v[10:11]
	v_add_f64 v[98:99], v[8:9], v[156:157]
	v_mul_f64 v[8:9], v[186:187], s[18:19]
	s_delay_alu instid0(VALU_DEP_3) | instskip(NEXT) | instid1(VALU_DEP_2)
	v_add_f64 v[78:79], v[12:13], v[168:169]
	v_fma_f64 v[10:11], v[180:181], s[24:25], v[8:9]
	v_fma_f64 v[8:9], v[180:181], s[24:25], -v[8:9]
	s_delay_alu instid0(VALU_DEP_2) | instskip(SKIP_1) | instid1(VALU_DEP_3)
	v_add_f64 v[80:81], v[10:11], v[170:171]
	v_mul_f64 v[10:11], v[182:183], s[24:25]
	v_add_f64 v[252:253], v[8:9], v[158:159]
	s_delay_alu instid0(VALU_DEP_2) | instskip(SKIP_1) | instid1(VALU_DEP_2)
	v_fma_f64 v[8:9], v[184:185], s[18:19], v[10:11]
	v_fma_f64 v[12:13], v[184:185], s[28:29], v[10:11]
	v_add_f64 v[254:255], v[8:9], v[172:173]
	v_mul_f64 v[8:9], v[186:187], s[0:1]
	s_delay_alu instid0(VALU_DEP_3) | instskip(NEXT) | instid1(VALU_DEP_2)
	v_add_f64 v[82:83], v[12:13], v[176:177]
	v_fma_f64 v[10:11], v[180:181], s[2:3], v[8:9]
	v_fma_f64 v[8:9], v[180:181], s[2:3], -v[8:9]
	s_delay_alu instid0(VALU_DEP_2) | instskip(SKIP_1) | instid1(VALU_DEP_3)
	v_add_f64 v[156:157], v[10:11], v[174:175]
	v_mul_f64 v[10:11], v[182:183], s[2:3]
	v_add_f64 v[152:153], v[8:9], v[4:5]
	s_delay_alu instid0(VALU_DEP_2) | instskip(SKIP_1) | instid1(VALU_DEP_2)
	v_fma_f64 v[12:13], v[184:185], s[8:9], v[10:11]
	v_fma_f64 v[4:5], v[184:185], s[0:1], v[10:11]
	v_add_f64 v[158:159], v[12:13], v[178:179]
	s_delay_alu instid0(VALU_DEP_2)
	v_add_f64 v[154:155], v[4:5], v[6:7]
	ds_store_b128 v236, v[104:107]
	ds_store_b128 v236, v[112:115] offset:32
	ds_store_b128 v236, v[120:123] offset:64
	;; [unrolled: 1-line block ×12, first 2 shown]
	ds_store_b128 v235, v[124:127]
	ds_store_b128 v235, v[100:103] offset:32
	ds_store_b128 v235, v[220:223] offset:64
	;; [unrolled: 1-line block ×12, first 2 shown]
	s_waitcnt lgkmcnt(0)
	s_barrier
	buffer_gl0_inv
	ds_load_b128 v[0:3], v234
	ds_load_b128 v[4:7], v234 offset:1664
	ds_load_b128 v[8:11], v234 offset:3328
	;; [unrolled: 1-line block ×25, first 2 shown]
	scratch_load_b128 v[106:109], off, off offset:552 ; 16-byte Folded Reload
	s_waitcnt vmcnt(0) lgkmcnt(24)
	v_mul_f64 v[20:21], v[108:109], v[6:7]
	s_delay_alu instid0(VALU_DEP_1) | instskip(SKIP_1) | instid1(VALU_DEP_1)
	v_fma_f64 v[20:21], v[106:107], v[4:5], v[20:21]
	v_mul_f64 v[4:5], v[108:109], v[4:5]
	v_fma_f64 v[4:5], v[106:107], v[6:7], -v[4:5]
	scratch_load_b128 v[106:109], off, off offset:488 ; 16-byte Folded Reload
	s_waitcnt vmcnt(0) lgkmcnt(23)
	v_mul_f64 v[6:7], v[108:109], v[10:11]
	s_delay_alu instid0(VALU_DEP_1) | instskip(SKIP_1) | instid1(VALU_DEP_1)
	v_fma_f64 v[144:145], v[106:107], v[8:9], v[6:7]
	v_mul_f64 v[6:7], v[108:109], v[8:9]
	v_fma_f64 v[140:141], v[106:107], v[10:11], -v[6:7]
	scratch_load_b128 v[8:11], off, off offset:472 ; 16-byte Folded Reload
	s_waitcnt vmcnt(0) lgkmcnt(22)
	v_mul_f64 v[6:7], v[10:11], v[14:15]
	s_delay_alu instid0(VALU_DEP_1) | instskip(SKIP_1) | instid1(VALU_DEP_1)
	v_fma_f64 v[136:137], v[8:9], v[12:13], v[6:7]
	v_mul_f64 v[6:7], v[10:11], v[12:13]
	v_fma_f64 v[132:133], v[8:9], v[14:15], -v[6:7]
	scratch_load_b128 v[8:11], off, off offset:456 ; 16-byte Folded Reload
	s_waitcnt vmcnt(0) lgkmcnt(21)
	v_mul_f64 v[6:7], v[10:11], v[18:19]
	s_delay_alu instid0(VALU_DEP_1) | instskip(SKIP_1) | instid1(VALU_DEP_1)
	v_fma_f64 v[124:125], v[8:9], v[16:17], v[6:7]
	v_mul_f64 v[6:7], v[10:11], v[16:17]
	v_fma_f64 v[126:127], v[8:9], v[18:19], -v[6:7]
	scratch_load_b128 v[8:11], off, off offset:568 ; 16-byte Folded Reload
	s_waitcnt vmcnt(0) lgkmcnt(20)
	v_mul_f64 v[6:7], v[10:11], v[78:79]
	s_delay_alu instid0(VALU_DEP_1) | instskip(SKIP_1) | instid1(VALU_DEP_1)
	v_fma_f64 v[112:113], v[8:9], v[76:77], v[6:7]
	v_mul_f64 v[6:7], v[10:11], v[76:77]
	v_fma_f64 v[114:115], v[8:9], v[78:79], -v[6:7]
	scratch_load_b128 v[8:11], off, off offset:536 ; 16-byte Folded Reload
	s_waitcnt vmcnt(0) lgkmcnt(19)
	v_mul_f64 v[6:7], v[10:11], v[82:83]
	s_delay_alu instid0(VALU_DEP_1) | instskip(SKIP_1) | instid1(VALU_DEP_1)
	v_fma_f64 v[108:109], v[8:9], v[80:81], v[6:7]
	v_mul_f64 v[6:7], v[10:11], v[80:81]
	v_fma_f64 v[84:85], v[8:9], v[82:83], -v[6:7]
	scratch_load_b128 v[8:11], off, off offset:520 ; 16-byte Folded Reload
	s_waitcnt vmcnt(0) lgkmcnt(18)
	v_mul_f64 v[6:7], v[10:11], v[88:89]
	s_delay_alu instid0(VALU_DEP_1) | instskip(SKIP_1) | instid1(VALU_DEP_1)
	v_fma_f64 v[110:111], v[8:9], v[86:87], v[6:7]
	v_mul_f64 v[6:7], v[10:11], v[86:87]
	v_fma_f64 v[86:87], v[8:9], v[88:89], -v[6:7]
	scratch_load_b128 v[8:11], off, off offset:504 ; 16-byte Folded Reload
	s_waitcnt vmcnt(0) lgkmcnt(17)
	v_mul_f64 v[6:7], v[10:11], v[92:93]
	s_delay_alu instid0(VALU_DEP_1) | instskip(SKIP_1) | instid1(VALU_DEP_1)
	v_fma_f64 v[116:117], v[8:9], v[90:91], v[6:7]
	v_mul_f64 v[6:7], v[10:11], v[90:91]
	v_fma_f64 v[118:119], v[8:9], v[92:93], -v[6:7]
	scratch_load_b128 v[8:11], off, off offset:632 ; 16-byte Folded Reload
	s_waitcnt vmcnt(0) lgkmcnt(16)
	v_mul_f64 v[6:7], v[10:11], v[96:97]
	s_delay_alu instid0(VALU_DEP_1) | instskip(SKIP_1) | instid1(VALU_DEP_1)
	v_fma_f64 v[128:129], v[8:9], v[94:95], v[6:7]
	v_mul_f64 v[6:7], v[10:11], v[94:95]
	v_fma_f64 v[130:131], v[8:9], v[96:97], -v[6:7]
	scratch_load_b128 v[8:11], off, off offset:616 ; 16-byte Folded Reload
	s_waitcnt vmcnt(0) lgkmcnt(15)
	v_mul_f64 v[6:7], v[10:11], v[100:101]
	s_delay_alu instid0(VALU_DEP_1)
	v_fma_f64 v[138:139], v[8:9], v[98:99], v[6:7]
	v_mul_f64 v[6:7], v[10:11], v[98:99]
	scratch_load_b128 v[10:13], off, off offset:600 ; 16-byte Folded Reload
	v_fma_f64 v[134:135], v[8:9], v[100:101], -v[6:7]
	s_waitcnt vmcnt(0) lgkmcnt(14)
	v_mul_f64 v[6:7], v[12:13], v[104:105]
	v_mul_f64 v[8:9], v[12:13], v[102:103]
	scratch_load_b128 v[12:15], off, off offset:584 ; 16-byte Folded Reload
	v_fma_f64 v[6:7], v[10:11], v[102:103], v[6:7]
	v_fma_f64 v[142:143], v[10:11], v[104:105], -v[8:9]
	s_waitcnt vmcnt(0) lgkmcnt(13)
	v_mul_f64 v[8:9], v[14:15], v[148:149]
	v_mul_f64 v[10:11], v[14:15], v[146:147]
	scratch_load_b128 v[14:17], off, off offset:696 ; 16-byte Folded Reload
	v_fma_f64 v[8:9], v[12:13], v[146:147], v[8:9]
	v_fma_f64 v[10:11], v[12:13], v[148:149], -v[10:11]
	s_waitcnt vmcnt(0) lgkmcnt(11)
	v_mul_f64 v[12:13], v[16:17], v[152:153]
	s_delay_alu instid0(VALU_DEP_1) | instskip(SKIP_1) | instid1(VALU_DEP_1)
	v_fma_f64 v[178:179], v[14:15], v[150:151], v[12:13]
	v_mul_f64 v[12:13], v[16:17], v[150:151]
	v_fma_f64 v[176:177], v[14:15], v[152:153], -v[12:13]
	scratch_load_b128 v[14:17], off, off offset:680 ; 16-byte Folded Reload
	s_waitcnt vmcnt(0) lgkmcnt(10)
	v_mul_f64 v[12:13], v[16:17], v[156:157]
	s_delay_alu instid0(VALU_DEP_1) | instskip(SKIP_1) | instid1(VALU_DEP_1)
	v_fma_f64 v[172:173], v[14:15], v[154:155], v[12:13]
	v_mul_f64 v[12:13], v[16:17], v[154:155]
	v_fma_f64 v[168:169], v[14:15], v[156:157], -v[12:13]
	scratch_load_b128 v[14:17], off, off offset:664 ; 16-byte Folded Reload
	;; [unrolled: 7-line block ×11, first 2 shown]
	s_waitcnt vmcnt(0) lgkmcnt(0)
	s_barrier
	buffer_gl0_inv
	v_mul_f64 v[12:13], v[16:17], v[214:215]
	s_delay_alu instid0(VALU_DEP_1) | instskip(SKIP_1) | instid1(VALU_DEP_1)
	v_fma_f64 v[182:183], v[14:15], v[212:213], v[12:13]
	v_mul_f64 v[12:13], v[16:17], v[212:213]
	v_fma_f64 v[180:181], v[14:15], v[214:215], -v[12:13]
	v_add_f64 v[14:15], v[2:3], v[4:5]
	v_add_f64 v[12:13], v[0:1], v[20:21]
	s_delay_alu instid0(VALU_DEP_2) | instskip(NEXT) | instid1(VALU_DEP_2)
	v_add_f64 v[14:15], v[14:15], v[140:141]
	v_add_f64 v[12:13], v[12:13], v[144:145]
	s_delay_alu instid0(VALU_DEP_2) | instskip(NEXT) | instid1(VALU_DEP_2)
	;; [unrolled: 3-line block ×10, first 2 shown]
	v_add_f64 v[14:15], v[14:15], v[142:143]
	v_add_f64 v[12:13], v[12:13], v[6:7]
	s_delay_alu instid0(VALU_DEP_2) | instskip(SKIP_2) | instid1(VALU_DEP_4)
	v_add_f64 v[106:107], v[14:15], v[10:11]
	v_add_f64 v[14:15], v[4:5], v[10:11]
	v_add_f64 v[4:5], v[4:5], -v[10:11]
	v_add_f64 v[104:105], v[12:13], v[8:9]
	v_add_f64 v[12:13], v[20:21], v[8:9]
	v_add_f64 v[8:9], v[20:21], -v[8:9]
	v_mul_f64 v[18:19], v[14:15], s[20:21]
	v_mul_f64 v[10:11], v[4:5], s[26:27]
	;; [unrolled: 1-line block ×12, first 2 shown]
	v_fma_f64 v[20:21], v[8:9], s[22:23], v[18:19]
	v_fma_f64 v[16:17], v[12:13], s[20:21], v[10:11]
	v_fma_f64 v[10:11], v[12:13], s[20:21], -v[10:11]
	v_fma_f64 v[146:147], v[12:13], s[14:15], v[22:23]
	v_fma_f64 v[22:23], v[12:13], s[14:15], -v[22:23]
	v_fma_f64 v[154:155], v[12:13], s[2:3], v[152:153]
	v_fma_f64 v[152:153], v[12:13], s[2:3], -v[152:153]
	v_fma_f64 v[186:187], v[12:13], s[24:25], v[184:185]
	v_fma_f64 v[184:185], v[12:13], s[24:25], -v[184:185]
	v_fma_f64 v[194:195], v[12:13], s[34:35], v[192:193]
	v_fma_f64 v[192:193], v[12:13], s[34:35], -v[192:193]
	v_fma_f64 v[200:201], v[12:13], s[40:41], v[4:5]
	v_fma_f64 v[4:5], v[12:13], s[40:41], -v[4:5]
	v_fma_f64 v[18:19], v[8:9], s[26:27], v[18:19]
	v_fma_f64 v[150:151], v[8:9], s[16:17], v[148:149]
	;; [unrolled: 1-line block ×10, first 2 shown]
	v_add_f64 v[12:13], v[140:141], -v[142:143]
	v_add_f64 v[20:21], v[2:3], v[20:21]
	v_add_f64 v[16:17], v[0:1], v[16:17]
	;; [unrolled: 1-line block ×13, first 2 shown]
	v_fma_f64 v[4:5], v[8:9], s[38:39], v[14:15]
	v_add_f64 v[18:19], v[2:3], v[18:19]
	v_add_f64 v[150:151], v[2:3], v[150:151]
	;; [unrolled: 1-line block ×10, first 2 shown]
	v_mul_f64 v[14:15], v[12:13], s[10:11]
	v_add_f64 v[8:9], v[140:141], v[142:143]
	v_add_f64 v[2:3], v[2:3], v[4:5]
	;; [unrolled: 1-line block ×3, first 2 shown]
	v_add_f64 v[6:7], v[144:145], -v[6:7]
	s_delay_alu instid0(VALU_DEP_2) | instskip(SKIP_1) | instid1(VALU_DEP_2)
	v_fma_f64 v[140:141], v[4:5], s[14:15], v[14:15]
	v_fma_f64 v[14:15], v[4:5], s[14:15], -v[14:15]
	v_add_f64 v[16:17], v[140:141], v[16:17]
	v_mul_f64 v[140:141], v[8:9], s[14:15]
	s_delay_alu instid0(VALU_DEP_3) | instskip(NEXT) | instid1(VALU_DEP_2)
	v_add_f64 v[10:11], v[14:15], v[10:11]
	v_fma_f64 v[14:15], v[6:7], s[10:11], v[140:141]
	v_fma_f64 v[142:143], v[6:7], s[16:17], v[140:141]
	s_delay_alu instid0(VALU_DEP_2) | instskip(SKIP_1) | instid1(VALU_DEP_3)
	v_add_f64 v[14:15], v[14:15], v[18:19]
	v_mul_f64 v[18:19], v[12:13], s[18:19]
	v_add_f64 v[20:21], v[142:143], v[20:21]
	v_mul_f64 v[142:143], v[8:9], s[24:25]
	s_delay_alu instid0(VALU_DEP_3) | instskip(SKIP_1) | instid1(VALU_DEP_3)
	v_fma_f64 v[140:141], v[4:5], s[24:25], v[18:19]
	v_fma_f64 v[18:19], v[4:5], s[24:25], -v[18:19]
	v_fma_f64 v[144:145], v[6:7], s[28:29], v[142:143]
	s_delay_alu instid0(VALU_DEP_3) | instskip(NEXT) | instid1(VALU_DEP_3)
	v_add_f64 v[140:141], v[140:141], v[146:147]
	v_add_f64 v[18:19], v[18:19], v[22:23]
	v_fma_f64 v[22:23], v[6:7], s[18:19], v[142:143]
	v_mul_f64 v[142:143], v[12:13], s[38:39]
	v_add_f64 v[144:145], v[144:145], v[150:151]
	s_delay_alu instid0(VALU_DEP_3) | instskip(NEXT) | instid1(VALU_DEP_3)
	v_add_f64 v[22:23], v[22:23], v[148:149]
	v_fma_f64 v[146:147], v[4:5], s[40:41], v[142:143]
	v_fma_f64 v[142:143], v[4:5], s[40:41], -v[142:143]
	v_mul_f64 v[148:149], v[8:9], s[40:41]
	s_delay_alu instid0(VALU_DEP_3) | instskip(NEXT) | instid1(VALU_DEP_3)
	v_add_f64 v[146:147], v[146:147], v[154:155]
	v_add_f64 v[142:143], v[142:143], v[152:153]
	v_mul_f64 v[152:153], v[12:13], s[36:37]
	s_delay_alu instid0(VALU_DEP_4) | instskip(SKIP_1) | instid1(VALU_DEP_3)
	v_fma_f64 v[150:151], v[6:7], s[42:43], v[148:149]
	v_fma_f64 v[148:149], v[6:7], s[38:39], v[148:149]
	;; [unrolled: 1-line block ×3, first 2 shown]
	v_fma_f64 v[152:153], v[4:5], s[34:35], -v[152:153]
	s_delay_alu instid0(VALU_DEP_3)
	v_add_f64 v[148:149], v[148:149], v[156:157]
	v_mul_f64 v[156:157], v[8:9], s[34:35]
	v_add_f64 v[150:151], v[150:151], v[158:159]
	v_add_f64 v[154:155], v[154:155], v[186:187]
	;; [unrolled: 1-line block ×3, first 2 shown]
	v_mul_f64 v[184:185], v[12:13], s[0:1]
	v_fma_f64 v[158:159], v[6:7], s[30:31], v[156:157]
	v_fma_f64 v[156:157], v[6:7], s[36:37], v[156:157]
	v_mul_f64 v[12:13], v[12:13], s[22:23]
	s_delay_alu instid0(VALU_DEP_4) | instskip(SKIP_1) | instid1(VALU_DEP_4)
	v_fma_f64 v[186:187], v[4:5], s[2:3], v[184:185]
	v_fma_f64 v[184:185], v[4:5], s[2:3], -v[184:185]
	v_add_f64 v[156:157], v[156:157], v[188:189]
	v_mul_f64 v[188:189], v[8:9], s[2:3]
	v_mul_f64 v[8:9], v[8:9], s[20:21]
	v_add_f64 v[158:159], v[158:159], v[190:191]
	v_add_f64 v[186:187], v[186:187], v[194:195]
	;; [unrolled: 1-line block ×3, first 2 shown]
	v_fma_f64 v[192:193], v[4:5], s[20:21], v[12:13]
	v_fma_f64 v[4:5], v[4:5], s[20:21], -v[12:13]
	v_add_f64 v[12:13], v[132:133], -v[134:135]
	v_fma_f64 v[190:191], v[6:7], s[8:9], v[188:189]
	v_fma_f64 v[188:189], v[6:7], s[0:1], v[188:189]
	;; [unrolled: 1-line block ×3, first 2 shown]
	v_add_f64 v[192:193], v[192:193], v[200:201]
	v_add_f64 v[0:1], v[4:5], v[0:1]
	v_fma_f64 v[4:5], v[6:7], s[22:23], v[8:9]
	v_add_f64 v[6:7], v[132:133], v[134:135]
	v_mul_f64 v[132:133], v[12:13], s[8:9]
	v_add_f64 v[8:9], v[136:137], -v[138:139]
	v_add_f64 v[188:189], v[188:189], v[196:197]
	v_add_f64 v[190:191], v[190:191], v[198:199]
	;; [unrolled: 1-line block ×5, first 2 shown]
	s_delay_alu instid0(VALU_DEP_1) | instskip(SKIP_1) | instid1(VALU_DEP_2)
	v_fma_f64 v[134:135], v[4:5], s[2:3], v[132:133]
	v_fma_f64 v[132:133], v[4:5], s[2:3], -v[132:133]
	v_add_f64 v[16:17], v[134:135], v[16:17]
	v_mul_f64 v[134:135], v[6:7], s[2:3]
	s_delay_alu instid0(VALU_DEP_3) | instskip(NEXT) | instid1(VALU_DEP_2)
	v_add_f64 v[10:11], v[132:133], v[10:11]
	v_fma_f64 v[132:133], v[8:9], s[8:9], v[134:135]
	v_fma_f64 v[136:137], v[8:9], s[0:1], v[134:135]
	s_delay_alu instid0(VALU_DEP_2) | instskip(SKIP_1) | instid1(VALU_DEP_3)
	v_add_f64 v[14:15], v[132:133], v[14:15]
	v_mul_f64 v[132:133], v[12:13], s[38:39]
	v_add_f64 v[20:21], v[136:137], v[20:21]
	v_mul_f64 v[136:137], v[6:7], s[40:41]
	s_delay_alu instid0(VALU_DEP_3) | instskip(SKIP_1) | instid1(VALU_DEP_3)
	v_fma_f64 v[134:135], v[4:5], s[40:41], v[132:133]
	v_fma_f64 v[132:133], v[4:5], s[40:41], -v[132:133]
	v_fma_f64 v[138:139], v[8:9], s[42:43], v[136:137]
	s_delay_alu instid0(VALU_DEP_3) | instskip(NEXT) | instid1(VALU_DEP_3)
	v_add_f64 v[134:135], v[134:135], v[140:141]
	v_add_f64 v[18:19], v[132:133], v[18:19]
	v_fma_f64 v[132:133], v[8:9], s[38:39], v[136:137]
	v_mul_f64 v[140:141], v[6:7], s[24:25]
	v_add_f64 v[138:139], v[138:139], v[144:145]
	s_delay_alu instid0(VALU_DEP_3) | instskip(SKIP_1) | instid1(VALU_DEP_4)
	v_add_f64 v[22:23], v[132:133], v[22:23]
	v_mul_f64 v[132:133], v[12:13], s[28:29]
	v_fma_f64 v[144:145], v[8:9], s[18:19], v[140:141]
	v_fma_f64 v[140:141], v[8:9], s[28:29], v[140:141]
	s_delay_alu instid0(VALU_DEP_3) | instskip(SKIP_1) | instid1(VALU_DEP_3)
	v_fma_f64 v[136:137], v[4:5], s[24:25], v[132:133]
	v_fma_f64 v[132:133], v[4:5], s[24:25], -v[132:133]
	v_add_f64 v[140:141], v[140:141], v[148:149]
	v_mul_f64 v[148:149], v[6:7], s[20:21]
	v_add_f64 v[144:145], v[144:145], v[150:151]
	v_add_f64 v[136:137], v[136:137], v[146:147]
	;; [unrolled: 1-line block ×3, first 2 shown]
	v_mul_f64 v[142:143], v[12:13], s[22:23]
	v_fma_f64 v[150:151], v[8:9], s[26:27], v[148:149]
	v_fma_f64 v[148:149], v[8:9], s[22:23], v[148:149]
	s_delay_alu instid0(VALU_DEP_3) | instskip(SKIP_1) | instid1(VALU_DEP_3)
	v_fma_f64 v[146:147], v[4:5], s[20:21], v[142:143]
	v_fma_f64 v[142:143], v[4:5], s[20:21], -v[142:143]
	v_add_f64 v[148:149], v[148:149], v[156:157]
	v_mul_f64 v[156:157], v[6:7], s[14:15]
	v_mul_f64 v[6:7], v[6:7], s[34:35]
	v_add_f64 v[150:151], v[150:151], v[158:159]
	v_add_f64 v[146:147], v[146:147], v[154:155]
	;; [unrolled: 1-line block ×3, first 2 shown]
	v_mul_f64 v[152:153], v[12:13], s[10:11]
	v_mul_f64 v[12:13], v[12:13], s[30:31]
	v_fma_f64 v[158:159], v[8:9], s[16:17], v[156:157]
	v_fma_f64 v[156:157], v[8:9], s[10:11], v[156:157]
	s_delay_alu instid0(VALU_DEP_4) | instskip(SKIP_1) | instid1(VALU_DEP_4)
	v_fma_f64 v[154:155], v[4:5], s[14:15], v[152:153]
	v_fma_f64 v[152:153], v[4:5], s[14:15], -v[152:153]
	v_add_f64 v[158:159], v[158:159], v[190:191]
	s_delay_alu instid0(VALU_DEP_4) | instskip(NEXT) | instid1(VALU_DEP_4)
	v_add_f64 v[156:157], v[156:157], v[188:189]
	v_add_f64 v[154:155], v[154:155], v[186:187]
	s_delay_alu instid0(VALU_DEP_4) | instskip(SKIP_4) | instid1(VALU_DEP_4)
	v_add_f64 v[152:153], v[152:153], v[184:185]
	v_fma_f64 v[184:185], v[4:5], s[34:35], v[12:13]
	v_fma_f64 v[4:5], v[4:5], s[34:35], -v[12:13]
	v_add_f64 v[12:13], v[126:127], -v[130:131]
	v_fma_f64 v[186:187], v[8:9], s[36:37], v[6:7]
	v_add_f64 v[184:185], v[184:185], v[192:193]
	s_delay_alu instid0(VALU_DEP_4) | instskip(SKIP_4) | instid1(VALU_DEP_4)
	v_add_f64 v[0:1], v[4:5], v[0:1]
	v_fma_f64 v[4:5], v[8:9], s[30:31], v[6:7]
	v_add_f64 v[8:9], v[124:125], -v[128:129]
	v_add_f64 v[6:7], v[126:127], v[130:131]
	v_add_f64 v[186:187], v[186:187], v[194:195]
	;; [unrolled: 1-line block ×4, first 2 shown]
	v_mul_f64 v[124:125], v[12:13], s[18:19]
	s_delay_alu instid0(VALU_DEP_1) | instskip(SKIP_1) | instid1(VALU_DEP_2)
	v_fma_f64 v[126:127], v[4:5], s[24:25], v[124:125]
	v_fma_f64 v[124:125], v[4:5], s[24:25], -v[124:125]
	v_add_f64 v[16:17], v[126:127], v[16:17]
	v_mul_f64 v[126:127], v[6:7], s[24:25]
	s_delay_alu instid0(VALU_DEP_3) | instskip(NEXT) | instid1(VALU_DEP_2)
	v_add_f64 v[10:11], v[124:125], v[10:11]
	v_fma_f64 v[124:125], v[8:9], s[18:19], v[126:127]
	v_fma_f64 v[128:129], v[8:9], s[28:29], v[126:127]
	s_delay_alu instid0(VALU_DEP_2) | instskip(SKIP_1) | instid1(VALU_DEP_3)
	v_add_f64 v[14:15], v[124:125], v[14:15]
	v_mul_f64 v[124:125], v[12:13], s[36:37]
	v_add_f64 v[20:21], v[128:129], v[20:21]
	v_mul_f64 v[128:129], v[6:7], s[34:35]
	s_delay_alu instid0(VALU_DEP_3) | instskip(SKIP_1) | instid1(VALU_DEP_3)
	v_fma_f64 v[126:127], v[4:5], s[34:35], v[124:125]
	v_fma_f64 v[124:125], v[4:5], s[34:35], -v[124:125]
	v_fma_f64 v[130:131], v[8:9], s[30:31], v[128:129]
	s_delay_alu instid0(VALU_DEP_3) | instskip(NEXT) | instid1(VALU_DEP_3)
	v_add_f64 v[126:127], v[126:127], v[134:135]
	v_add_f64 v[18:19], v[124:125], v[18:19]
	v_fma_f64 v[124:125], v[8:9], s[36:37], v[128:129]
	v_mul_f64 v[134:135], v[6:7], s[20:21]
	v_add_f64 v[130:131], v[130:131], v[138:139]
	s_delay_alu instid0(VALU_DEP_3) | instskip(SKIP_1) | instid1(VALU_DEP_1)
	v_add_f64 v[22:23], v[124:125], v[22:23]
	v_mul_f64 v[124:125], v[12:13], s[22:23]
	v_fma_f64 v[128:129], v[4:5], s[20:21], v[124:125]
	v_fma_f64 v[124:125], v[4:5], s[20:21], -v[124:125]
	s_delay_alu instid0(VALU_DEP_2) | instskip(SKIP_1) | instid1(VALU_DEP_3)
	v_add_f64 v[128:129], v[128:129], v[136:137]
	v_fma_f64 v[136:137], v[8:9], s[26:27], v[134:135]
	v_add_f64 v[124:125], v[124:125], v[132:133]
	v_fma_f64 v[132:133], v[8:9], s[22:23], v[134:135]
	v_mul_f64 v[134:135], v[12:13], s[8:9]
	s_delay_alu instid0(VALU_DEP_4) | instskip(NEXT) | instid1(VALU_DEP_3)
	v_add_f64 v[136:137], v[136:137], v[144:145]
	v_add_f64 v[132:133], v[132:133], v[140:141]
	s_delay_alu instid0(VALU_DEP_3) | instskip(SKIP_2) | instid1(VALU_DEP_3)
	v_fma_f64 v[138:139], v[4:5], s[2:3], v[134:135]
	v_fma_f64 v[134:135], v[4:5], s[2:3], -v[134:135]
	v_mul_f64 v[140:141], v[6:7], s[2:3]
	v_add_f64 v[138:139], v[138:139], v[146:147]
	s_delay_alu instid0(VALU_DEP_3) | instskip(SKIP_1) | instid1(VALU_DEP_4)
	v_add_f64 v[134:135], v[134:135], v[142:143]
	v_mul_f64 v[142:143], v[12:13], s[42:43]
	v_fma_f64 v[144:145], v[8:9], s[0:1], v[140:141]
	v_fma_f64 v[140:141], v[8:9], s[8:9], v[140:141]
	v_mul_f64 v[12:13], v[12:13], s[16:17]
	s_delay_alu instid0(VALU_DEP_4) | instskip(SKIP_1) | instid1(VALU_DEP_4)
	v_fma_f64 v[146:147], v[4:5], s[40:41], v[142:143]
	v_fma_f64 v[142:143], v[4:5], s[40:41], -v[142:143]
	v_add_f64 v[140:141], v[140:141], v[148:149]
	v_mul_f64 v[148:149], v[6:7], s[40:41]
	v_mul_f64 v[6:7], v[6:7], s[14:15]
	v_add_f64 v[144:145], v[144:145], v[150:151]
	v_add_f64 v[146:147], v[146:147], v[154:155]
	;; [unrolled: 1-line block ×3, first 2 shown]
	v_fma_f64 v[152:153], v[4:5], s[14:15], v[12:13]
	v_fma_f64 v[4:5], v[4:5], s[14:15], -v[12:13]
	v_add_f64 v[12:13], v[114:115], -v[118:119]
	v_fma_f64 v[150:151], v[8:9], s[38:39], v[148:149]
	v_fma_f64 v[148:149], v[8:9], s[42:43], v[148:149]
	;; [unrolled: 1-line block ×3, first 2 shown]
	v_add_f64 v[152:153], v[152:153], v[184:185]
	v_add_f64 v[0:1], v[4:5], v[0:1]
	v_fma_f64 v[4:5], v[8:9], s[16:17], v[6:7]
	v_add_f64 v[8:9], v[112:113], -v[116:117]
	v_add_f64 v[6:7], v[114:115], v[118:119]
	v_add_f64 v[148:149], v[148:149], v[156:157]
	;; [unrolled: 1-line block ×6, first 2 shown]
	v_mul_f64 v[112:113], v[12:13], s[30:31]
	s_delay_alu instid0(VALU_DEP_1) | instskip(SKIP_1) | instid1(VALU_DEP_2)
	v_fma_f64 v[114:115], v[4:5], s[34:35], v[112:113]
	v_fma_f64 v[112:113], v[4:5], s[34:35], -v[112:113]
	v_add_f64 v[16:17], v[114:115], v[16:17]
	v_mul_f64 v[114:115], v[6:7], s[34:35]
	s_delay_alu instid0(VALU_DEP_3) | instskip(NEXT) | instid1(VALU_DEP_2)
	v_add_f64 v[10:11], v[112:113], v[10:11]
	v_fma_f64 v[112:113], v[8:9], s[30:31], v[114:115]
	v_fma_f64 v[116:117], v[8:9], s[36:37], v[114:115]
	s_delay_alu instid0(VALU_DEP_2) | instskip(SKIP_1) | instid1(VALU_DEP_3)
	v_add_f64 v[14:15], v[112:113], v[14:15]
	v_mul_f64 v[112:113], v[12:13], s[0:1]
	v_add_f64 v[20:21], v[116:117], v[20:21]
	s_delay_alu instid0(VALU_DEP_2) | instskip(SKIP_1) | instid1(VALU_DEP_2)
	v_fma_f64 v[114:115], v[4:5], s[2:3], v[112:113]
	v_fma_f64 v[112:113], v[4:5], s[2:3], -v[112:113]
	v_add_f64 v[116:117], v[114:115], v[126:127]
	v_mul_f64 v[114:115], v[6:7], s[2:3]
	s_delay_alu instid0(VALU_DEP_3) | instskip(NEXT) | instid1(VALU_DEP_2)
	v_add_f64 v[18:19], v[112:113], v[18:19]
	v_fma_f64 v[112:113], v[8:9], s[0:1], v[114:115]
	v_fma_f64 v[118:119], v[8:9], s[8:9], v[114:115]
	s_delay_alu instid0(VALU_DEP_2) | instskip(SKIP_1) | instid1(VALU_DEP_3)
	v_add_f64 v[22:23], v[112:113], v[22:23]
	v_mul_f64 v[112:113], v[12:13], s[10:11]
	v_add_f64 v[118:119], v[118:119], v[130:131]
	s_delay_alu instid0(VALU_DEP_2) | instskip(SKIP_1) | instid1(VALU_DEP_2)
	v_fma_f64 v[114:115], v[4:5], s[14:15], v[112:113]
	v_fma_f64 v[112:113], v[4:5], s[14:15], -v[112:113]
	v_add_f64 v[128:129], v[114:115], v[128:129]
	v_mul_f64 v[114:115], v[6:7], s[14:15]
	s_delay_alu instid0(VALU_DEP_1) | instskip(NEXT) | instid1(VALU_DEP_1)
	v_fma_f64 v[126:127], v[8:9], s[16:17], v[114:115]
	v_add_f64 v[130:131], v[126:127], v[136:137]
	v_add_f64 v[136:137], v[112:113], v[124:125]
	v_fma_f64 v[112:113], v[8:9], s[10:11], v[114:115]
	s_delay_alu instid0(VALU_DEP_1) | instskip(SKIP_1) | instid1(VALU_DEP_1)
	v_add_f64 v[156:157], v[112:113], v[132:133]
	v_mul_f64 v[112:113], v[12:13], s[42:43]
	v_fma_f64 v[114:115], v[4:5], s[40:41], v[112:113]
	v_fma_f64 v[112:113], v[4:5], s[40:41], -v[112:113]
	s_delay_alu instid0(VALU_DEP_2) | instskip(SKIP_1) | instid1(VALU_DEP_3)
	v_add_f64 v[138:139], v[114:115], v[138:139]
	v_mul_f64 v[114:115], v[6:7], s[40:41]
	v_add_f64 v[158:159], v[112:113], v[134:135]
	s_delay_alu instid0(VALU_DEP_2) | instskip(SKIP_1) | instid1(VALU_DEP_2)
	v_fma_f64 v[112:113], v[8:9], s[42:43], v[114:115]
	v_fma_f64 v[124:125], v[8:9], s[38:39], v[114:115]
	v_add_f64 v[140:141], v[112:113], v[140:141]
	v_mul_f64 v[112:113], v[12:13], s[22:23]
	v_mul_f64 v[12:13], v[12:13], s[18:19]
	s_delay_alu instid0(VALU_DEP_4) | instskip(NEXT) | instid1(VALU_DEP_3)
	v_add_f64 v[144:145], v[124:125], v[144:145]
	v_fma_f64 v[114:115], v[4:5], s[20:21], v[112:113]
	v_fma_f64 v[112:113], v[4:5], s[20:21], -v[112:113]
	s_delay_alu instid0(VALU_DEP_2) | instskip(SKIP_1) | instid1(VALU_DEP_3)
	v_add_f64 v[146:147], v[114:115], v[146:147]
	v_mul_f64 v[114:115], v[6:7], s[20:21]
	v_add_f64 v[184:185], v[112:113], v[142:143]
	v_mul_f64 v[6:7], v[6:7], s[24:25]
	s_delay_alu instid0(VALU_DEP_3) | instskip(SKIP_1) | instid1(VALU_DEP_2)
	v_fma_f64 v[112:113], v[8:9], s[22:23], v[114:115]
	v_fma_f64 v[124:125], v[8:9], s[26:27], v[114:115]
	v_add_f64 v[148:149], v[112:113], v[148:149]
	v_fma_f64 v[112:113], v[4:5], s[24:25], v[12:13]
	v_fma_f64 v[4:5], v[4:5], s[24:25], -v[12:13]
	v_add_f64 v[12:13], v[84:85], -v[86:87]
	v_add_f64 v[150:151], v[124:125], v[150:151]
	s_delay_alu instid0(VALU_DEP_4) | instskip(NEXT) | instid1(VALU_DEP_4)
	v_add_f64 v[152:153], v[112:113], v[152:153]
	v_add_f64 v[0:1], v[4:5], v[0:1]
	v_fma_f64 v[4:5], v[8:9], s[18:19], v[6:7]
	v_fma_f64 v[112:113], v[8:9], s[28:29], v[6:7]
	v_add_f64 v[6:7], v[84:85], v[86:87]
	v_mul_f64 v[84:85], v[12:13], s[38:39]
	v_add_f64 v[8:9], v[108:109], -v[110:111]
	v_add_f64 v[2:3], v[4:5], v[2:3]
	v_add_f64 v[4:5], v[108:109], v[110:111]
	;; [unrolled: 1-line block ×3, first 2 shown]
	s_delay_alu instid0(VALU_DEP_2) | instskip(NEXT) | instid1(VALU_DEP_1)
	v_fma_f64 v[86:87], v[4:5], s[40:41], v[84:85]
	v_add_f64 v[112:113], v[86:87], v[16:17]
	v_mul_f64 v[16:17], v[6:7], s[40:41]
	s_delay_alu instid0(VALU_DEP_1) | instskip(NEXT) | instid1(VALU_DEP_1)
	v_fma_f64 v[86:87], v[8:9], s[42:43], v[16:17]
	v_add_f64 v[114:115], v[86:87], v[20:21]
	v_fma_f64 v[20:21], v[4:5], s[40:41], -v[84:85]
	s_delay_alu instid0(VALU_DEP_1) | instskip(SKIP_1) | instid1(VALU_DEP_1)
	v_add_f64 v[108:109], v[20:21], v[10:11]
	v_fma_f64 v[10:11], v[8:9], s[38:39], v[16:17]
	v_add_f64 v[110:111], v[10:11], v[14:15]
	v_mul_f64 v[10:11], v[12:13], s[22:23]
	s_delay_alu instid0(VALU_DEP_1) | instskip(SKIP_1) | instid1(VALU_DEP_2)
	v_fma_f64 v[14:15], v[4:5], s[20:21], v[10:11]
	v_fma_f64 v[10:11], v[4:5], s[20:21], -v[10:11]
	v_add_f64 v[124:125], v[14:15], v[116:117]
	v_mul_f64 v[14:15], v[6:7], s[20:21]
	s_delay_alu instid0(VALU_DEP_3) | instskip(NEXT) | instid1(VALU_DEP_2)
	v_add_f64 v[116:117], v[10:11], v[18:19]
	v_fma_f64 v[16:17], v[8:9], s[26:27], v[14:15]
	v_fma_f64 v[10:11], v[8:9], s[22:23], v[14:15]
	s_delay_alu instid0(VALU_DEP_2) | instskip(NEXT) | instid1(VALU_DEP_2)
	v_add_f64 v[126:127], v[16:17], v[118:119]
	v_add_f64 v[118:119], v[10:11], v[22:23]
	v_mul_f64 v[10:11], v[12:13], s[30:31]
	s_delay_alu instid0(VALU_DEP_1) | instskip(SKIP_1) | instid1(VALU_DEP_2)
	v_fma_f64 v[14:15], v[4:5], s[34:35], v[10:11]
	v_fma_f64 v[10:11], v[4:5], s[34:35], -v[10:11]
	v_add_f64 v[132:133], v[14:15], v[128:129]
	v_mul_f64 v[14:15], v[6:7], s[34:35]
	s_delay_alu instid0(VALU_DEP_3) | instskip(NEXT) | instid1(VALU_DEP_2)
	v_add_f64 v[128:129], v[10:11], v[136:137]
	v_fma_f64 v[16:17], v[8:9], s[36:37], v[14:15]
	v_fma_f64 v[10:11], v[8:9], s[30:31], v[14:15]
	s_delay_alu instid0(VALU_DEP_2) | instskip(NEXT) | instid1(VALU_DEP_2)
	v_add_f64 v[134:135], v[16:17], v[130:131]
	v_add_f64 v[130:131], v[10:11], v[156:157]
	v_mul_f64 v[10:11], v[12:13], s[16:17]
	s_delay_alu instid0(VALU_DEP_1) | instskip(SKIP_1) | instid1(VALU_DEP_2)
	v_fma_f64 v[14:15], v[4:5], s[14:15], v[10:11]
	v_fma_f64 v[10:11], v[4:5], s[14:15], -v[10:11]
	v_add_f64 v[136:137], v[14:15], v[138:139]
	v_mul_f64 v[14:15], v[6:7], s[14:15]
	s_delay_alu instid0(VALU_DEP_3) | instskip(NEXT) | instid1(VALU_DEP_2)
	v_add_f64 v[84:85], v[10:11], v[158:159]
	v_fma_f64 v[10:11], v[8:9], s[16:17], v[14:15]
	v_fma_f64 v[16:17], v[8:9], s[10:11], v[14:15]
	s_delay_alu instid0(VALU_DEP_2) | instskip(SKIP_1) | instid1(VALU_DEP_3)
	v_add_f64 v[86:87], v[10:11], v[140:141]
	v_mul_f64 v[10:11], v[12:13], s[18:19]
	v_add_f64 v[138:139], v[16:17], v[144:145]
	s_delay_alu instid0(VALU_DEP_2) | instskip(SKIP_1) | instid1(VALU_DEP_2)
	v_fma_f64 v[14:15], v[4:5], s[24:25], v[10:11]
	v_fma_f64 v[10:11], v[4:5], s[24:25], -v[10:11]
	v_add_f64 v[140:141], v[14:15], v[146:147]
	v_mul_f64 v[14:15], v[6:7], s[24:25]
	s_delay_alu instid0(VALU_DEP_3) | instskip(SKIP_1) | instid1(VALU_DEP_3)
	v_add_f64 v[144:145], v[10:11], v[184:185]
	v_mul_f64 v[6:7], v[6:7], s[2:3]
	v_fma_f64 v[10:11], v[8:9], s[18:19], v[14:15]
	v_fma_f64 v[16:17], v[8:9], s[28:29], v[14:15]
	s_delay_alu instid0(VALU_DEP_2) | instskip(SKIP_1) | instid1(VALU_DEP_3)
	v_add_f64 v[146:147], v[10:11], v[148:149]
	v_mul_f64 v[10:11], v[12:13], s[0:1]
	v_add_f64 v[142:143], v[16:17], v[150:151]
	s_delay_alu instid0(VALU_DEP_2) | instskip(SKIP_1) | instid1(VALU_DEP_2)
	v_fma_f64 v[12:13], v[4:5], s[2:3], v[10:11]
	v_fma_f64 v[4:5], v[4:5], s[2:3], -v[10:11]
	v_add_f64 v[148:149], v[12:13], v[152:153]
	v_fma_f64 v[12:13], v[8:9], s[8:9], v[6:7]
	s_delay_alu instid0(VALU_DEP_3) | instskip(SKIP_4) | instid1(VALU_DEP_4)
	v_add_f64 v[152:153], v[4:5], v[0:1]
	v_fma_f64 v[0:1], v[8:9], s[0:1], v[6:7]
	v_add_f64 v[4:5], v[178:179], -v[182:183]
	v_add_f64 v[6:7], v[176:177], -v[180:181]
	v_add_f64 v[150:151], v[12:13], v[154:155]
	v_add_f64 v[154:155], v[0:1], v[2:3]
	;; [unrolled: 1-line block ×4, first 2 shown]
	v_mul_f64 v[8:9], v[6:7], s[26:27]
	v_mul_f64 v[16:17], v[6:7], s[10:11]
	;; [unrolled: 1-line block ×4, first 2 shown]
	v_add_f64 v[2:3], v[2:3], v[168:169]
	v_add_f64 v[0:1], v[0:1], v[172:173]
	s_delay_alu instid0(VALU_DEP_2) | instskip(NEXT) | instid1(VALU_DEP_2)
	v_add_f64 v[2:3], v[2:3], v[160:161]
	v_add_f64 v[0:1], v[0:1], v[164:165]
	s_delay_alu instid0(VALU_DEP_2) | instskip(NEXT) | instid1(VALU_DEP_2)
	;; [unrolled: 3-line block ×9, first 2 shown]
	v_add_f64 v[2:3], v[2:3], v[170:171]
	v_add_f64 v[0:1], v[0:1], v[174:175]
	s_delay_alu instid0(VALU_DEP_2) | instskip(SKIP_1) | instid1(VALU_DEP_3)
	v_add_f64 v[158:159], v[2:3], v[180:181]
	v_add_f64 v[2:3], v[176:177], v[180:181]
	;; [unrolled: 1-line block ×4, first 2 shown]
	v_mul_f64 v[176:177], v[6:7], s[8:9]
	v_mul_f64 v[6:7], v[6:7], s[38:39]
	;; [unrolled: 1-line block ×8, first 2 shown]
	v_fma_f64 v[10:11], v[0:1], s[20:21], v[8:9]
	v_fma_f64 v[8:9], v[0:1], s[20:21], -v[8:9]
	v_fma_f64 v[18:19], v[0:1], s[14:15], v[16:17]
	v_fma_f64 v[16:17], v[0:1], s[14:15], -v[16:17]
	v_fma_f64 v[178:179], v[0:1], s[2:3], v[176:177]
	v_fma_f64 v[176:177], v[0:1], s[2:3], -v[176:177]
	v_fma_f64 v[186:187], v[0:1], s[24:25], v[184:185]
	v_fma_f64 v[184:185], v[0:1], s[24:25], -v[184:185]
	v_fma_f64 v[194:195], v[0:1], s[34:35], v[192:193]
	v_fma_f64 v[192:193], v[0:1], s[34:35], -v[192:193]
	v_fma_f64 v[200:201], v[0:1], s[40:41], v[6:7]
	v_fma_f64 v[0:1], v[0:1], s[40:41], -v[6:7]
	v_add_f64 v[6:7], v[168:169], v[170:171]
	v_fma_f64 v[14:15], v[4:5], s[22:23], v[12:13]
	v_fma_f64 v[12:13], v[4:5], s[26:27], v[12:13]
	;; [unrolled: 1-line block ×12, first 2 shown]
	v_add_f64 v[4:5], v[172:173], v[174:175]
	v_add_f64 v[10:11], v[120:121], v[10:11]
	;; [unrolled: 1-line block ×13, first 2 shown]
	v_add_f64 v[120:121], v[172:173], -v[174:175]
	v_add_f64 v[14:15], v[122:123], v[14:15]
	v_add_f64 v[12:13], v[122:123], v[12:13]
	v_add_f64 v[22:23], v[122:123], v[22:23]
	v_add_f64 v[20:21], v[122:123], v[20:21]
	v_add_f64 v[182:183], v[122:123], v[182:183]
	v_add_f64 v[180:181], v[122:123], v[180:181]
	v_add_f64 v[190:191], v[122:123], v[190:191]
	v_add_f64 v[188:189], v[122:123], v[188:189]
	v_add_f64 v[198:199], v[122:123], v[198:199]
	v_add_f64 v[196:197], v[122:123], v[196:197]
	v_add_f64 v[202:203], v[122:123], v[202:203]
	v_add_f64 v[2:3], v[122:123], v[2:3]
	v_add_f64 v[122:123], v[168:169], -v[170:171]
	s_delay_alu instid0(VALU_DEP_1) | instskip(NEXT) | instid1(VALU_DEP_1)
	v_mul_f64 v[168:169], v[122:123], s[10:11]
	v_fma_f64 v[170:171], v[4:5], s[14:15], v[168:169]
	v_fma_f64 v[168:169], v[4:5], s[14:15], -v[168:169]
	s_delay_alu instid0(VALU_DEP_2) | instskip(SKIP_1) | instid1(VALU_DEP_3)
	v_add_f64 v[10:11], v[170:171], v[10:11]
	v_mul_f64 v[170:171], v[6:7], s[14:15]
	v_add_f64 v[8:9], v[168:169], v[8:9]
	s_delay_alu instid0(VALU_DEP_2) | instskip(SKIP_1) | instid1(VALU_DEP_2)
	v_fma_f64 v[168:169], v[120:121], s[10:11], v[170:171]
	v_fma_f64 v[172:173], v[120:121], s[16:17], v[170:171]
	v_add_f64 v[12:13], v[168:169], v[12:13]
	v_mul_f64 v[168:169], v[122:123], s[18:19]
	s_delay_alu instid0(VALU_DEP_3) | instskip(NEXT) | instid1(VALU_DEP_2)
	v_add_f64 v[14:15], v[172:173], v[14:15]
	v_fma_f64 v[170:171], v[4:5], s[24:25], v[168:169]
	v_fma_f64 v[168:169], v[4:5], s[24:25], -v[168:169]
	s_delay_alu instid0(VALU_DEP_2) | instskip(SKIP_1) | instid1(VALU_DEP_3)
	v_add_f64 v[18:19], v[170:171], v[18:19]
	v_mul_f64 v[170:171], v[6:7], s[24:25]
	v_add_f64 v[16:17], v[168:169], v[16:17]
	s_delay_alu instid0(VALU_DEP_2) | instskip(SKIP_1) | instid1(VALU_DEP_2)
	v_fma_f64 v[168:169], v[120:121], s[18:19], v[170:171]
	v_fma_f64 v[172:173], v[120:121], s[28:29], v[170:171]
	v_add_f64 v[20:21], v[168:169], v[20:21]
	v_mul_f64 v[168:169], v[122:123], s[38:39]
	s_delay_alu instid0(VALU_DEP_3) | instskip(SKIP_1) | instid1(VALU_DEP_3)
	v_add_f64 v[22:23], v[172:173], v[22:23]
	v_mul_f64 v[172:173], v[6:7], s[40:41]
	v_fma_f64 v[170:171], v[4:5], s[40:41], v[168:169]
	v_fma_f64 v[168:169], v[4:5], s[40:41], -v[168:169]
	s_delay_alu instid0(VALU_DEP_3) | instskip(SKIP_1) | instid1(VALU_DEP_4)
	v_fma_f64 v[174:175], v[120:121], s[42:43], v[172:173]
	v_fma_f64 v[172:173], v[120:121], s[38:39], v[172:173]
	v_add_f64 v[170:171], v[170:171], v[178:179]
	s_delay_alu instid0(VALU_DEP_4) | instskip(SKIP_1) | instid1(VALU_DEP_4)
	v_add_f64 v[168:169], v[168:169], v[176:177]
	v_mul_f64 v[176:177], v[122:123], s[36:37]
	v_add_f64 v[172:173], v[172:173], v[180:181]
	v_mul_f64 v[180:181], v[6:7], s[34:35]
	v_add_f64 v[174:175], v[174:175], v[182:183]
	s_delay_alu instid0(VALU_DEP_4) | instskip(SKIP_1) | instid1(VALU_DEP_4)
	v_fma_f64 v[178:179], v[4:5], s[34:35], v[176:177]
	v_fma_f64 v[176:177], v[4:5], s[34:35], -v[176:177]
	v_fma_f64 v[182:183], v[120:121], s[30:31], v[180:181]
	v_fma_f64 v[180:181], v[120:121], s[36:37], v[180:181]
	s_delay_alu instid0(VALU_DEP_4) | instskip(NEXT) | instid1(VALU_DEP_4)
	v_add_f64 v[178:179], v[178:179], v[186:187]
	v_add_f64 v[176:177], v[176:177], v[184:185]
	v_mul_f64 v[184:185], v[122:123], s[0:1]
	v_mul_f64 v[122:123], v[122:123], s[22:23]
	v_add_f64 v[180:181], v[180:181], v[188:189]
	v_mul_f64 v[188:189], v[6:7], s[2:3]
	v_mul_f64 v[6:7], v[6:7], s[20:21]
	v_add_f64 v[182:183], v[182:183], v[190:191]
	v_fma_f64 v[186:187], v[4:5], s[2:3], v[184:185]
	v_fma_f64 v[184:185], v[4:5], s[2:3], -v[184:185]
	v_fma_f64 v[190:191], v[120:121], s[8:9], v[188:189]
	v_fma_f64 v[188:189], v[120:121], s[0:1], v[188:189]
	s_delay_alu instid0(VALU_DEP_4) | instskip(NEXT) | instid1(VALU_DEP_4)
	v_add_f64 v[186:187], v[186:187], v[194:195]
	v_add_f64 v[184:185], v[184:185], v[192:193]
	v_fma_f64 v[192:193], v[4:5], s[20:21], v[122:123]
	v_fma_f64 v[4:5], v[4:5], s[20:21], -v[122:123]
	v_add_f64 v[122:123], v[160:161], -v[162:163]
	v_fma_f64 v[194:195], v[120:121], s[26:27], v[6:7]
	v_add_f64 v[188:189], v[188:189], v[196:197]
	v_add_f64 v[190:191], v[190:191], v[198:199]
	;; [unrolled: 1-line block ×4, first 2 shown]
	v_fma_f64 v[4:5], v[120:121], s[22:23], v[6:7]
	v_add_f64 v[6:7], v[160:161], v[162:163]
	v_mul_f64 v[160:161], v[122:123], s[8:9]
	v_add_f64 v[120:121], v[164:165], -v[166:167]
	v_add_f64 v[194:195], v[194:195], v[202:203]
	v_add_f64 v[2:3], v[4:5], v[2:3]
	v_add_f64 v[4:5], v[164:165], v[166:167]
	s_delay_alu instid0(VALU_DEP_1) | instskip(SKIP_1) | instid1(VALU_DEP_2)
	v_fma_f64 v[162:163], v[4:5], s[2:3], v[160:161]
	v_fma_f64 v[160:161], v[4:5], s[2:3], -v[160:161]
	v_add_f64 v[10:11], v[162:163], v[10:11]
	v_mul_f64 v[162:163], v[6:7], s[2:3]
	s_delay_alu instid0(VALU_DEP_3) | instskip(NEXT) | instid1(VALU_DEP_2)
	v_add_f64 v[8:9], v[160:161], v[8:9]
	v_fma_f64 v[160:161], v[120:121], s[8:9], v[162:163]
	v_fma_f64 v[164:165], v[120:121], s[0:1], v[162:163]
	s_delay_alu instid0(VALU_DEP_2) | instskip(SKIP_1) | instid1(VALU_DEP_3)
	v_add_f64 v[12:13], v[160:161], v[12:13]
	v_mul_f64 v[160:161], v[122:123], s[38:39]
	v_add_f64 v[14:15], v[164:165], v[14:15]
	s_delay_alu instid0(VALU_DEP_2) | instskip(SKIP_1) | instid1(VALU_DEP_2)
	v_fma_f64 v[162:163], v[4:5], s[40:41], v[160:161]
	v_fma_f64 v[160:161], v[4:5], s[40:41], -v[160:161]
	v_add_f64 v[18:19], v[162:163], v[18:19]
	v_mul_f64 v[162:163], v[6:7], s[40:41]
	s_delay_alu instid0(VALU_DEP_3) | instskip(NEXT) | instid1(VALU_DEP_2)
	v_add_f64 v[16:17], v[160:161], v[16:17]
	v_fma_f64 v[160:161], v[120:121], s[38:39], v[162:163]
	v_fma_f64 v[164:165], v[120:121], s[42:43], v[162:163]
	s_delay_alu instid0(VALU_DEP_2) | instskip(SKIP_1) | instid1(VALU_DEP_3)
	v_add_f64 v[20:21], v[160:161], v[20:21]
	v_mul_f64 v[160:161], v[122:123], s[28:29]
	v_add_f64 v[22:23], v[164:165], v[22:23]
	v_mul_f64 v[164:165], v[6:7], s[24:25]
	s_delay_alu instid0(VALU_DEP_3) | instskip(SKIP_1) | instid1(VALU_DEP_3)
	v_fma_f64 v[162:163], v[4:5], s[24:25], v[160:161]
	v_fma_f64 v[160:161], v[4:5], s[24:25], -v[160:161]
	v_fma_f64 v[166:167], v[120:121], s[18:19], v[164:165]
	v_fma_f64 v[164:165], v[120:121], s[28:29], v[164:165]
	s_delay_alu instid0(VALU_DEP_4) | instskip(NEXT) | instid1(VALU_DEP_4)
	v_add_f64 v[162:163], v[162:163], v[170:171]
	v_add_f64 v[160:161], v[160:161], v[168:169]
	v_mul_f64 v[168:169], v[122:123], s[22:23]
	s_delay_alu instid0(VALU_DEP_4) | instskip(SKIP_2) | instid1(VALU_DEP_4)
	v_add_f64 v[164:165], v[164:165], v[172:173]
	v_mul_f64 v[172:173], v[6:7], s[20:21]
	v_add_f64 v[166:167], v[166:167], v[174:175]
	v_fma_f64 v[170:171], v[4:5], s[20:21], v[168:169]
	v_fma_f64 v[168:169], v[4:5], s[20:21], -v[168:169]
	s_delay_alu instid0(VALU_DEP_4) | instskip(SKIP_1) | instid1(VALU_DEP_4)
	v_fma_f64 v[174:175], v[120:121], s[26:27], v[172:173]
	v_fma_f64 v[172:173], v[120:121], s[22:23], v[172:173]
	v_add_f64 v[170:171], v[170:171], v[178:179]
	s_delay_alu instid0(VALU_DEP_4)
	v_add_f64 v[168:169], v[168:169], v[176:177]
	v_mul_f64 v[176:177], v[122:123], s[10:11]
	v_mul_f64 v[122:123], v[122:123], s[30:31]
	v_add_f64 v[172:173], v[172:173], v[180:181]
	v_mul_f64 v[180:181], v[6:7], s[14:15]
	v_mul_f64 v[6:7], v[6:7], s[34:35]
	v_add_f64 v[174:175], v[174:175], v[182:183]
	v_fma_f64 v[178:179], v[4:5], s[14:15], v[176:177]
	v_fma_f64 v[176:177], v[4:5], s[14:15], -v[176:177]
	v_fma_f64 v[182:183], v[120:121], s[16:17], v[180:181]
	v_fma_f64 v[180:181], v[120:121], s[10:11], v[180:181]
	s_delay_alu instid0(VALU_DEP_4) | instskip(NEXT) | instid1(VALU_DEP_4)
	v_add_f64 v[178:179], v[178:179], v[186:187]
	v_add_f64 v[176:177], v[176:177], v[184:185]
	v_fma_f64 v[184:185], v[4:5], s[34:35], v[122:123]
	v_fma_f64 v[4:5], v[4:5], s[34:35], -v[122:123]
	v_fma_f64 v[186:187], v[120:121], s[36:37], v[6:7]
	v_add_f64 v[180:181], v[180:181], v[188:189]
	v_add_f64 v[182:183], v[182:183], v[190:191]
	;; [unrolled: 1-line block ×4, first 2 shown]
	v_fma_f64 v[4:5], v[120:121], s[30:31], v[6:7]
	v_add_f64 v[6:7], v[96:97], v[98:99]
	v_add_f64 v[96:97], v[96:97], -v[98:99]
	v_add_f64 v[186:187], v[186:187], v[194:195]
	s_delay_alu instid0(VALU_DEP_4) | instskip(SKIP_1) | instid1(VALU_DEP_4)
	v_add_f64 v[2:3], v[4:5], v[2:3]
	v_add_f64 v[4:5], v[100:101], v[102:103]
	v_mul_f64 v[98:99], v[96:97], s[18:19]
	v_add_f64 v[100:101], v[100:101], -v[102:103]
	s_delay_alu instid0(VALU_DEP_2) | instskip(SKIP_1) | instid1(VALU_DEP_2)
	v_fma_f64 v[102:103], v[4:5], s[24:25], v[98:99]
	v_fma_f64 v[98:99], v[4:5], s[24:25], -v[98:99]
	v_add_f64 v[10:11], v[102:103], v[10:11]
	v_mul_f64 v[102:103], v[6:7], s[24:25]
	s_delay_alu instid0(VALU_DEP_3) | instskip(NEXT) | instid1(VALU_DEP_2)
	v_add_f64 v[8:9], v[98:99], v[8:9]
	v_fma_f64 v[98:99], v[100:101], s[18:19], v[102:103]
	v_fma_f64 v[120:121], v[100:101], s[28:29], v[102:103]
	s_delay_alu instid0(VALU_DEP_2) | instskip(SKIP_1) | instid1(VALU_DEP_3)
	v_add_f64 v[12:13], v[98:99], v[12:13]
	v_mul_f64 v[98:99], v[96:97], s[36:37]
	v_add_f64 v[14:15], v[120:121], v[14:15]
	s_delay_alu instid0(VALU_DEP_2) | instskip(SKIP_1) | instid1(VALU_DEP_2)
	v_fma_f64 v[102:103], v[4:5], s[34:35], v[98:99]
	v_fma_f64 v[98:99], v[4:5], s[34:35], -v[98:99]
	v_add_f64 v[18:19], v[102:103], v[18:19]
	v_mul_f64 v[102:103], v[6:7], s[34:35]
	s_delay_alu instid0(VALU_DEP_3) | instskip(NEXT) | instid1(VALU_DEP_2)
	v_add_f64 v[16:17], v[98:99], v[16:17]
	v_fma_f64 v[98:99], v[100:101], s[36:37], v[102:103]
	v_fma_f64 v[120:121], v[100:101], s[30:31], v[102:103]
	s_delay_alu instid0(VALU_DEP_2) | instskip(SKIP_1) | instid1(VALU_DEP_3)
	v_add_f64 v[20:21], v[98:99], v[20:21]
	v_mul_f64 v[98:99], v[96:97], s[22:23]
	v_add_f64 v[22:23], v[120:121], v[22:23]
	v_mul_f64 v[120:121], v[6:7], s[20:21]
	s_delay_alu instid0(VALU_DEP_3) | instskip(SKIP_1) | instid1(VALU_DEP_3)
	v_fma_f64 v[102:103], v[4:5], s[20:21], v[98:99]
	v_fma_f64 v[98:99], v[4:5], s[20:21], -v[98:99]
	v_fma_f64 v[122:123], v[100:101], s[26:27], v[120:121]
	v_fma_f64 v[120:121], v[100:101], s[22:23], v[120:121]
	s_delay_alu instid0(VALU_DEP_4) | instskip(NEXT) | instid1(VALU_DEP_4)
	v_add_f64 v[102:103], v[102:103], v[162:163]
	v_add_f64 v[98:99], v[98:99], v[160:161]
	v_mul_f64 v[160:161], v[96:97], s[8:9]
	s_delay_alu instid0(VALU_DEP_4) | instskip(SKIP_2) | instid1(VALU_DEP_4)
	v_add_f64 v[120:121], v[120:121], v[164:165]
	v_mul_f64 v[164:165], v[6:7], s[2:3]
	v_add_f64 v[122:123], v[122:123], v[166:167]
	v_fma_f64 v[162:163], v[4:5], s[2:3], v[160:161]
	v_fma_f64 v[160:161], v[4:5], s[2:3], -v[160:161]
	s_delay_alu instid0(VALU_DEP_4) | instskip(SKIP_1) | instid1(VALU_DEP_4)
	v_fma_f64 v[166:167], v[100:101], s[0:1], v[164:165]
	v_fma_f64 v[164:165], v[100:101], s[8:9], v[164:165]
	v_add_f64 v[162:163], v[162:163], v[170:171]
	s_delay_alu instid0(VALU_DEP_4)
	v_add_f64 v[160:161], v[160:161], v[168:169]
	v_mul_f64 v[168:169], v[96:97], s[42:43]
	v_mul_f64 v[96:97], v[96:97], s[16:17]
	v_add_f64 v[164:165], v[164:165], v[172:173]
	v_mul_f64 v[172:173], v[6:7], s[40:41]
	v_mul_f64 v[6:7], v[6:7], s[14:15]
	v_add_f64 v[166:167], v[166:167], v[174:175]
	v_fma_f64 v[170:171], v[4:5], s[40:41], v[168:169]
	v_fma_f64 v[168:169], v[4:5], s[40:41], -v[168:169]
	v_fma_f64 v[174:175], v[100:101], s[38:39], v[172:173]
	v_fma_f64 v[172:173], v[100:101], s[42:43], v[172:173]
	s_delay_alu instid0(VALU_DEP_4) | instskip(NEXT) | instid1(VALU_DEP_4)
	v_add_f64 v[170:171], v[170:171], v[178:179]
	v_add_f64 v[168:169], v[168:169], v[176:177]
	v_fma_f64 v[176:177], v[4:5], s[14:15], v[96:97]
	v_fma_f64 v[4:5], v[4:5], s[14:15], -v[96:97]
	v_fma_f64 v[178:179], v[100:101], s[10:11], v[6:7]
	v_add_f64 v[172:173], v[172:173], v[180:181]
	v_add_f64 v[174:175], v[174:175], v[182:183]
	;; [unrolled: 1-line block ×4, first 2 shown]
	v_fma_f64 v[4:5], v[100:101], s[16:17], v[6:7]
	v_add_f64 v[6:7], v[88:89], v[90:91]
	v_add_f64 v[88:89], v[88:89], -v[90:91]
	v_add_f64 v[178:179], v[178:179], v[186:187]
	s_delay_alu instid0(VALU_DEP_4) | instskip(SKIP_1) | instid1(VALU_DEP_4)
	v_add_f64 v[2:3], v[4:5], v[2:3]
	v_add_f64 v[4:5], v[92:93], v[94:95]
	v_mul_f64 v[90:91], v[88:89], s[30:31]
	v_add_f64 v[92:93], v[92:93], -v[94:95]
	s_delay_alu instid0(VALU_DEP_2) | instskip(SKIP_1) | instid1(VALU_DEP_2)
	v_fma_f64 v[94:95], v[4:5], s[34:35], v[90:91]
	v_fma_f64 v[90:91], v[4:5], s[34:35], -v[90:91]
	v_add_f64 v[10:11], v[94:95], v[10:11]
	v_mul_f64 v[94:95], v[6:7], s[34:35]
	s_delay_alu instid0(VALU_DEP_3) | instskip(NEXT) | instid1(VALU_DEP_2)
	v_add_f64 v[8:9], v[90:91], v[8:9]
	v_fma_f64 v[90:91], v[92:93], s[30:31], v[94:95]
	v_fma_f64 v[96:97], v[92:93], s[36:37], v[94:95]
	s_delay_alu instid0(VALU_DEP_2) | instskip(SKIP_1) | instid1(VALU_DEP_3)
	v_add_f64 v[12:13], v[90:91], v[12:13]
	v_mul_f64 v[90:91], v[88:89], s[0:1]
	v_add_f64 v[14:15], v[96:97], v[14:15]
	s_delay_alu instid0(VALU_DEP_2) | instskip(SKIP_1) | instid1(VALU_DEP_2)
	v_fma_f64 v[94:95], v[4:5], s[2:3], v[90:91]
	v_fma_f64 v[90:91], v[4:5], s[2:3], -v[90:91]
	v_add_f64 v[18:19], v[94:95], v[18:19]
	v_mul_f64 v[94:95], v[6:7], s[2:3]
	s_delay_alu instid0(VALU_DEP_3) | instskip(NEXT) | instid1(VALU_DEP_2)
	v_add_f64 v[16:17], v[90:91], v[16:17]
	v_fma_f64 v[90:91], v[92:93], s[0:1], v[94:95]
	v_fma_f64 v[96:97], v[92:93], s[8:9], v[94:95]
	s_delay_alu instid0(VALU_DEP_2) | instskip(SKIP_1) | instid1(VALU_DEP_3)
	v_add_f64 v[20:21], v[90:91], v[20:21]
	v_mul_f64 v[90:91], v[88:89], s[10:11]
	v_add_f64 v[22:23], v[96:97], v[22:23]
	;; [unrolled: 13-line block ×4, first 2 shown]
	v_mul_f64 v[88:89], v[88:89], s[18:19]
	s_delay_alu instid0(VALU_DEP_3) | instskip(SKIP_1) | instid1(VALU_DEP_2)
	v_fma_f64 v[94:95], v[4:5], s[20:21], v[90:91]
	v_fma_f64 v[90:91], v[4:5], s[20:21], -v[90:91]
	v_add_f64 v[166:167], v[94:95], v[170:171]
	v_mul_f64 v[94:95], v[6:7], s[20:21]
	s_delay_alu instid0(VALU_DEP_3) | instskip(SKIP_1) | instid1(VALU_DEP_3)
	v_add_f64 v[168:169], v[90:91], v[168:169]
	v_mul_f64 v[6:7], v[6:7], s[24:25]
	v_fma_f64 v[90:91], v[92:93], s[22:23], v[94:95]
	v_fma_f64 v[96:97], v[92:93], s[26:27], v[94:95]
	v_add_f64 v[94:95], v[80:81], v[82:83]
	s_delay_alu instid0(VALU_DEP_3) | instskip(SKIP_1) | instid1(VALU_DEP_4)
	v_add_f64 v[172:173], v[90:91], v[172:173]
	v_fma_f64 v[90:91], v[4:5], s[24:25], v[88:89]
	v_add_f64 v[170:171], v[96:97], v[174:175]
	v_fma_f64 v[4:5], v[4:5], s[24:25], -v[88:89]
	s_delay_alu instid0(VALU_DEP_3) | instskip(SKIP_2) | instid1(VALU_DEP_2)
	v_add_f64 v[174:175], v[90:91], v[176:177]
	v_fma_f64 v[90:91], v[92:93], s[28:29], v[6:7]
	v_add_f64 v[176:177], v[76:77], v[78:79]
	v_add_f64 v[96:97], v[90:91], v[178:179]
	;; [unrolled: 1-line block ×3, first 2 shown]
	v_fma_f64 v[0:1], v[92:93], s[18:19], v[6:7]
	v_add_f64 v[178:179], v[76:77], -v[78:79]
	v_add_f64 v[92:93], v[80:81], -v[82:83]
	s_delay_alu instid0(VALU_DEP_3) | instskip(NEXT) | instid1(VALU_DEP_3)
	v_add_f64 v[88:89], v[0:1], v[2:3]
	v_mul_f64 v[0:1], v[178:179], s[38:39]
	s_delay_alu instid0(VALU_DEP_1) | instskip(SKIP_1) | instid1(VALU_DEP_2)
	v_fma_f64 v[2:3], v[94:95], s[40:41], v[0:1]
	v_fma_f64 v[0:1], v[94:95], s[40:41], -v[0:1]
	v_add_f64 v[80:81], v[2:3], v[10:11]
	v_mul_f64 v[2:3], v[176:177], s[40:41]
	s_delay_alu instid0(VALU_DEP_3) | instskip(SKIP_2) | instid1(VALU_DEP_4)
	v_add_f64 v[0:1], v[0:1], v[8:9]
	v_mul_f64 v[8:9], v[178:179], s[22:23]
	v_mul_f64 v[10:11], v[176:177], s[20:21]
	v_fma_f64 v[4:5], v[92:93], s[42:43], v[2:3]
	v_fma_f64 v[2:3], v[92:93], s[38:39], v[2:3]
	s_delay_alu instid0(VALU_DEP_3) | instskip(NEXT) | instid1(VALU_DEP_3)
	v_fma_f64 v[6:7], v[92:93], s[26:27], v[10:11]
	v_add_f64 v[82:83], v[4:5], v[14:15]
	v_fma_f64 v[4:5], v[94:95], s[20:21], v[8:9]
	v_fma_f64 v[8:9], v[94:95], s[20:21], -v[8:9]
	v_add_f64 v[2:3], v[2:3], v[12:13]
	v_mul_f64 v[12:13], v[178:179], s[30:31]
	v_add_f64 v[6:7], v[6:7], v[22:23]
	v_mul_f64 v[22:23], v[176:177], s[14:15]
	v_mul_f64 v[14:15], v[176:177], s[34:35]
	v_add_f64 v[4:5], v[4:5], v[18:19]
	v_add_f64 v[76:77], v[8:9], v[16:17]
	v_fma_f64 v[8:9], v[92:93], s[22:23], v[10:11]
	v_fma_f64 v[18:19], v[92:93], s[10:11], v[22:23]
	;; [unrolled: 1-line block ×4, first 2 shown]
	s_delay_alu instid0(VALU_DEP_4)
	v_add_f64 v[78:79], v[8:9], v[20:21]
	v_mul_f64 v[20:21], v[178:179], s[16:17]
	v_fma_f64 v[8:9], v[94:95], s[34:35], v[12:13]
	v_fma_f64 v[12:13], v[94:95], s[34:35], -v[12:13]
	v_add_f64 v[18:19], v[18:19], v[162:163]
	v_add_f64 v[14:15], v[14:15], v[120:121]
	;; [unrolled: 1-line block ×3, first 2 shown]
	v_fma_f64 v[16:17], v[94:95], s[14:15], v[20:21]
	v_fma_f64 v[20:21], v[94:95], s[14:15], -v[20:21]
	v_add_f64 v[12:13], v[12:13], v[98:99]
	v_add_f64 v[8:9], v[8:9], v[100:101]
	s_delay_alu instid0(VALU_DEP_4) | instskip(NEXT) | instid1(VALU_DEP_4)
	v_add_f64 v[16:17], v[16:17], v[122:123]
	v_add_f64 v[98:99], v[20:21], v[160:161]
	v_fma_f64 v[20:21], v[92:93], s[16:17], v[22:23]
	s_delay_alu instid0(VALU_DEP_1) | instskip(SKIP_1) | instid1(VALU_DEP_1)
	v_add_f64 v[100:101], v[20:21], v[164:165]
	v_mul_f64 v[20:21], v[178:179], s[18:19]
	v_fma_f64 v[22:23], v[94:95], s[24:25], v[20:21]
	v_fma_f64 v[20:21], v[94:95], s[24:25], -v[20:21]
	s_delay_alu instid0(VALU_DEP_2) | instskip(SKIP_1) | instid1(VALU_DEP_3)
	v_add_f64 v[120:121], v[22:23], v[166:167]
	v_mul_f64 v[22:23], v[176:177], s[24:25]
	v_add_f64 v[160:161], v[20:21], v[168:169]
	s_delay_alu instid0(VALU_DEP_2) | instskip(SKIP_1) | instid1(VALU_DEP_2)
	v_fma_f64 v[20:21], v[92:93], s[18:19], v[22:23]
	v_fma_f64 v[102:103], v[92:93], s[28:29], v[22:23]
	v_add_f64 v[162:163], v[20:21], v[172:173]
	v_mul_f64 v[20:21], v[178:179], s[0:1]
	s_delay_alu instid0(VALU_DEP_3) | instskip(NEXT) | instid1(VALU_DEP_2)
	v_add_f64 v[122:123], v[102:103], v[170:171]
	v_fma_f64 v[22:23], v[94:95], s[2:3], v[20:21]
	v_fma_f64 v[20:21], v[94:95], s[2:3], -v[20:21]
	s_delay_alu instid0(VALU_DEP_2) | instskip(SKIP_1) | instid1(VALU_DEP_3)
	v_add_f64 v[164:165], v[22:23], v[174:175]
	v_mul_f64 v[22:23], v[176:177], s[2:3]
	v_add_f64 v[90:91], v[20:21], v[90:91]
	s_delay_alu instid0(VALU_DEP_2) | instskip(SKIP_1) | instid1(VALU_DEP_2)
	v_fma_f64 v[102:103], v[92:93], s[8:9], v[22:23]
	v_fma_f64 v[20:21], v[92:93], s[0:1], v[22:23]
	v_add_f64 v[166:167], v[102:103], v[96:97]
	s_delay_alu instid0(VALU_DEP_2)
	v_add_f64 v[92:93], v[20:21], v[88:89]
	ds_store_b128 v237, v[104:107]
	ds_store_b128 v237, v[112:115] offset:416
	ds_store_b128 v237, v[124:127] offset:832
	;; [unrolled: 1-line block ×12, first 2 shown]
	ds_store_b128 v238, v[156:159]
	ds_store_b128 v238, v[80:83] offset:416
	ds_store_b128 v238, v[4:7] offset:832
	;; [unrolled: 1-line block ×12, first 2 shown]
	s_waitcnt lgkmcnt(0)
	s_barrier
	buffer_gl0_inv
	ds_load_b128 v[100:103], v234
	ds_load_b128 v[172:175], v234 offset:5408
	ds_load_b128 v[168:171], v234 offset:10816
	;; [unrolled: 1-line block ×23, first 2 shown]
	s_and_saveexec_b32 s0, vcc_lo
	s_cbranch_execz .LBB0_9
; %bb.8:
	ds_load_b128 v[76:79], v234 offset:4992
	ds_load_b128 v[0:3], v234 offset:10400
	;; [unrolled: 1-line block ×3, first 2 shown]
	s_waitcnt lgkmcnt(0)
	scratch_store_b128 off, v[4:7], off     ; 16-byte Folded Spill
	ds_load_b128 v[4:7], v234 offset:21216
	s_waitcnt lgkmcnt(0)
	scratch_store_b128 off, v[4:7], off offset:16 ; 16-byte Folded Spill
.LBB0_9:
	s_or_b32 exec_lo, exec_lo, s0
	s_clause 0x1
	scratch_load_b128 v[6:9], off, off offset:840
	scratch_load_b128 v[12:15], off, off offset:872
	s_waitcnt lgkmcnt(14)
	v_mul_f64 v[20:21], v[30:31], v[150:151]
	s_waitcnt lgkmcnt(13)
	v_mul_f64 v[22:23], v[34:35], v[144:145]
	s_delay_alu instid0(VALU_DEP_1) | instskip(SKIP_2) | instid1(VALU_DEP_1)
	v_fma_f64 v[22:23], v[32:33], v[146:147], -v[22:23]
	s_waitcnt vmcnt(1)
	v_mul_f64 v[4:5], v[8:9], v[174:175]
	v_fma_f64 v[176:177], v[6:7], v[172:173], v[4:5]
	v_mul_f64 v[4:5], v[8:9], v[172:173]
	scratch_load_b128 v[8:11], off, off offset:856 ; 16-byte Folded Reload
	v_fma_f64 v[172:173], v[6:7], v[174:175], -v[4:5]
	s_waitcnt vmcnt(0)
	v_mul_f64 v[4:5], v[10:11], v[170:171]
	v_mul_f64 v[6:7], v[10:11], v[168:169]
	;; [unrolled: 1-line block ×3, first 2 shown]
	s_delay_alu instid0(VALU_DEP_3) | instskip(NEXT) | instid1(VALU_DEP_3)
	v_fma_f64 v[4:5], v[8:9], v[168:169], v[4:5]
	v_fma_f64 v[6:7], v[8:9], v[170:171], -v[6:7]
	v_mul_f64 v[8:9], v[14:15], v[158:159]
	scratch_load_b128 v[14:17], off, off offset:888 ; 16-byte Folded Reload
	v_fma_f64 v[10:11], v[12:13], v[158:159], -v[10:11]
	v_fma_f64 v[8:9], v[12:13], v[156:157], v[8:9]
	s_waitcnt vmcnt(0)
	v_mul_f64 v[12:13], v[16:17], v[166:167]
	s_delay_alu instid0(VALU_DEP_1)
	v_fma_f64 v[156:157], v[14:15], v[164:165], v[12:13]
	v_mul_f64 v[12:13], v[16:17], v[164:165]
	scratch_load_b128 v[16:19], off, off offset:904 ; 16-byte Folded Reload
	v_fma_f64 v[158:159], v[14:15], v[166:167], -v[12:13]
	s_waitcnt vmcnt(0)
	v_mul_f64 v[12:13], v[18:19], v[162:163]
	v_mul_f64 v[14:15], v[18:19], v[160:161]
	;; [unrolled: 1-line block ×3, first 2 shown]
	s_delay_alu instid0(VALU_DEP_3) | instskip(NEXT) | instid1(VALU_DEP_3)
	v_fma_f64 v[12:13], v[16:17], v[160:161], v[12:13]
	v_fma_f64 v[14:15], v[16:17], v[162:163], -v[14:15]
	v_mul_f64 v[16:17], v[26:27], v[154:155]
	s_delay_alu instid0(VALU_DEP_4)
	v_fma_f64 v[18:19], v[24:25], v[154:155], -v[18:19]
	s_waitcnt lgkmcnt(12)
	v_mul_f64 v[26:27], v[38:39], v[132:133]
	v_add_f64 v[12:13], v[96:97], -v[12:13]
	v_add_f64 v[14:15], v[98:99], -v[14:15]
	v_fma_f64 v[16:17], v[24:25], v[152:153], v[16:17]
	v_fma_f64 v[152:153], v[28:29], v[148:149], v[20:21]
	v_mul_f64 v[20:21], v[30:31], v[148:149]
	v_mul_f64 v[24:25], v[38:39], v[134:135]
	v_fma_f64 v[26:27], v[36:37], v[134:135], -v[26:27]
	s_waitcnt lgkmcnt(10)
	v_mul_f64 v[30:31], v[42:43], v[142:143]
	s_waitcnt lgkmcnt(8)
	v_mul_f64 v[38:39], v[50:51], v[130:131]
	v_fma_f64 v[28:29], v[28:29], v[150:151], -v[20:21]
	v_mul_f64 v[20:21], v[34:35], v[146:147]
	v_fma_f64 v[24:25], v[36:37], v[132:133], v[24:25]
	v_mul_f64 v[34:35], v[46:47], v[138:139]
	v_mul_f64 v[36:37], v[46:47], v[136:137]
	v_fma_f64 v[30:31], v[40:41], v[140:141], v[30:31]
	v_fma_f64 v[38:39], v[48:49], v[128:129], v[38:39]
	s_waitcnt lgkmcnt(5)
	v_mul_f64 v[46:47], v[58:59], v[122:123]
	v_fma_f64 v[20:21], v[32:33], v[144:145], v[20:21]
	v_mul_f64 v[32:33], v[42:43], v[140:141]
	v_fma_f64 v[34:35], v[44:45], v[136:137], v[34:35]
	v_fma_f64 v[36:37], v[44:45], v[138:139], -v[36:37]
	v_mul_f64 v[42:43], v[54:55], v[126:127]
	v_mul_f64 v[44:45], v[54:55], v[124:125]
	v_fma_f64 v[46:47], v[56:57], v[120:121], v[46:47]
	s_waitcnt lgkmcnt(2)
	v_mul_f64 v[54:55], v[66:67], v[118:119]
	v_fma_f64 v[32:33], v[40:41], v[142:143], -v[32:33]
	v_mul_f64 v[40:41], v[50:51], v[128:129]
	v_mul_f64 v[50:51], v[62:63], v[110:111]
	v_fma_f64 v[42:43], v[52:53], v[124:125], v[42:43]
	v_fma_f64 v[44:45], v[52:53], v[126:127], -v[44:45]
	v_mul_f64 v[52:53], v[62:63], v[108:109]
	v_fma_f64 v[54:55], v[64:65], v[116:117], v[54:55]
	s_waitcnt lgkmcnt(0)
	v_mul_f64 v[62:63], v[74:75], v[106:107]
	v_fma_f64 v[40:41], v[48:49], v[130:131], -v[40:41]
	v_mul_f64 v[48:49], v[58:59], v[120:121]
	v_fma_f64 v[50:51], v[60:61], v[108:109], v[50:51]
	v_mul_f64 v[58:59], v[70:71], v[114:115]
	v_fma_f64 v[52:53], v[60:61], v[110:111], -v[52:53]
	v_mul_f64 v[60:61], v[70:71], v[112:113]
	v_fma_f64 v[62:63], v[72:73], v[104:105], v[62:63]
	v_fma_f64 v[48:49], v[56:57], v[122:123], -v[48:49]
	v_mul_f64 v[56:57], v[66:67], v[116:117]
	v_add_f64 v[66:67], v[100:101], -v[4:5]
	v_fma_f64 v[58:59], v[68:69], v[112:113], v[58:59]
	v_fma_f64 v[60:61], v[68:69], v[114:115], -v[60:61]
	v_add_f64 v[68:69], v[102:103], -v[6:7]
	v_fma_f64 v[56:57], v[64:65], v[118:119], -v[56:57]
	v_mul_f64 v[64:65], v[74:75], v[104:105]
	v_fma_f64 v[70:71], v[100:101], 2.0, -v[66:67]
	v_add_f64 v[74:75], v[172:173], -v[10:11]
	v_add_f64 v[100:101], v[176:177], -v[8:9]
	;; [unrolled: 1-line block ×4, first 2 shown]
	v_fma_f64 v[64:65], v[72:73], v[106:107], -v[64:65]
	v_fma_f64 v[72:73], v[102:103], 2.0, -v[68:69]
	v_add_f64 v[4:5], v[66:67], v[74:75]
	v_add_f64 v[6:7], v[68:69], -v[100:101]
	v_add_f64 v[102:103], v[28:29], -v[26:27]
	;; [unrolled: 1-line block ×3, first 2 shown]
	v_fma_f64 v[84:85], v[84:85], 2.0, -v[24:25]
	v_fma_f64 v[46:47], v[152:153], 2.0, -v[104:105]
	v_fma_f64 v[8:9], v[66:67], 2.0, -v[4:5]
	v_fma_f64 v[10:11], v[68:69], 2.0, -v[6:7]
	v_fma_f64 v[66:67], v[96:97], 2.0, -v[12:13]
	v_fma_f64 v[68:69], v[98:99], 2.0, -v[14:15]
	v_add_f64 v[96:97], v[158:159], -v[18:19]
	v_add_f64 v[98:99], v[156:157], -v[16:17]
	ds_store_b128 v234, v[4:7] offset:16224
	v_add_f64 v[16:17], v[92:93], -v[20:21]
	v_add_f64 v[18:19], v[94:95], -v[22:23]
	;; [unrolled: 1-line block ×8, first 2 shown]
	v_fma_f64 v[86:87], v[86:87], 2.0, -v[26:27]
	v_add_f64 v[50:51], v[82:83], -v[60:61]
	v_fma_f64 v[48:49], v[28:29], 2.0, -v[102:103]
	v_add_f64 v[4:5], v[12:13], v[96:97]
	v_add_f64 v[6:7], v[14:15], -v[98:99]
	v_fma_f64 v[92:93], v[92:93], 2.0, -v[16:17]
	v_fma_f64 v[94:95], v[94:95], 2.0, -v[18:19]
	;; [unrolled: 1-line block ×6, first 2 shown]
	ds_store_b128 v234, v[4:7] offset:17056
	v_add_f64 v[4:5], v[16:17], v[102:103]
	v_add_f64 v[6:7], v[18:19], -v[104:105]
	v_add_f64 v[28:29], v[92:93], -v[46:47]
	s_delay_alu instid0(VALU_DEP_3) | instskip(NEXT) | instid1(VALU_DEP_3)
	v_fma_f64 v[16:17], v[16:17], 2.0, -v[4:5]
	v_fma_f64 v[18:19], v[18:19], 2.0, -v[6:7]
	ds_store_b128 v234, v[4:7] offset:17888
	v_add_f64 v[4:5], v[20:21], v[34:35]
	v_add_f64 v[6:7], v[22:23], -v[36:37]
	v_fma_f64 v[36:37], v[30:31], 2.0, -v[36:37]
	v_fma_f64 v[34:35], v[32:33], 2.0, -v[34:35]
	v_add_f64 v[30:31], v[94:95], -v[48:49]
	v_fma_f64 v[48:49], v[92:93], 2.0, -v[28:29]
	v_fma_f64 v[20:21], v[20:21], 2.0, -v[4:5]
	;; [unrolled: 1-line block ×3, first 2 shown]
	ds_store_b128 v234, v[4:7] offset:18720
	v_add_f64 v[4:5], v[24:25], v[38:39]
	v_add_f64 v[6:7], v[26:27], -v[40:41]
	v_fma_f64 v[38:39], v[44:45], 2.0, -v[38:39]
	v_add_f64 v[44:45], v[80:81], -v[58:59]
	v_fma_f64 v[40:41], v[42:43], 2.0, -v[40:41]
	v_add_f64 v[32:33], v[88:89], -v[36:37]
	ds_store_b128 v234, v[4:7] offset:19552
	ds_store_b128 v234, v[8:11] offset:5408
	;; [unrolled: 1-line block ×3, first 2 shown]
	v_fma_f64 v[24:25], v[24:25], 2.0, -v[4:5]
	v_fma_f64 v[26:27], v[26:27], 2.0, -v[6:7]
	;; [unrolled: 1-line block ×5, first 2 shown]
	v_add_f64 v[34:35], v[90:91], -v[34:35]
	v_add_f64 v[36:37], v[84:85], -v[40:41]
	;; [unrolled: 1-line block ×5, first 2 shown]
	s_delay_alu instid0(VALU_DEP_3) | instskip(NEXT) | instid1(VALU_DEP_3)
	v_fma_f64 v[58:59], v[86:87], 2.0, -v[38:39]
	v_fma_f64 v[8:9], v[70:71], 2.0, -v[4:5]
	s_delay_alu instid0(VALU_DEP_3) | instskip(SKIP_3) | instid1(VALU_DEP_2)
	v_fma_f64 v[10:11], v[72:73], 2.0, -v[6:7]
	ds_store_b128 v234, v[4:7] offset:10816
	v_fma_f64 v[4:5], v[156:157], 2.0, -v[98:99]
	v_fma_f64 v[6:7], v[158:159], 2.0, -v[96:97]
	v_add_f64 v[4:5], v[66:67], -v[4:5]
	s_delay_alu instid0(VALU_DEP_2) | instskip(NEXT) | instid1(VALU_DEP_2)
	v_add_f64 v[6:7], v[68:69], -v[6:7]
	v_fma_f64 v[12:13], v[66:67], 2.0, -v[4:5]
	s_delay_alu instid0(VALU_DEP_2) | instskip(SKIP_4) | instid1(VALU_DEP_3)
	v_fma_f64 v[14:15], v[68:69], 2.0, -v[6:7]
	ds_store_b128 v234, v[4:7] offset:11648
	v_add_f64 v[6:7], v[54:55], -v[62:63]
	v_add_f64 v[4:5], v[56:57], -v[64:65]
	v_fma_f64 v[66:67], v[82:83], 2.0, -v[50:51]
	v_fma_f64 v[42:43], v[54:55], 2.0, -v[6:7]
	s_delay_alu instid0(VALU_DEP_3)
	v_fma_f64 v[52:53], v[56:57], 2.0, -v[4:5]
	v_add_f64 v[4:5], v[44:45], v[4:5]
	v_add_f64 v[6:7], v[50:51], -v[6:7]
	v_fma_f64 v[54:55], v[90:91], 2.0, -v[34:35]
	v_fma_f64 v[56:57], v[84:85], 2.0, -v[36:37]
	v_add_f64 v[40:41], v[60:61], -v[42:43]
	v_add_f64 v[42:43], v[66:67], -v[52:53]
	v_fma_f64 v[44:45], v[44:45], 2.0, -v[4:5]
	v_fma_f64 v[46:47], v[50:51], 2.0, -v[6:7]
	;; [unrolled: 1-line block ×6, first 2 shown]
	ds_store_b128 v234, v[16:19] offset:7072
	ds_store_b128 v234, v[20:23] offset:7904
	;; [unrolled: 1-line block ×8, first 2 shown]
	ds_store_b128 v234, v[8:11]
	ds_store_b128 v234, v[12:15] offset:832
	ds_store_b128 v234, v[48:51] offset:1664
	;; [unrolled: 1-line block ×6, first 2 shown]
	s_and_saveexec_b32 s0, vcc_lo
	s_cbranch_execz .LBB0_11
; %bb.10:
	s_clause 0x4
	scratch_load_b128 v[20:23], off, off offset:936
	scratch_load_b128 v[28:31], off, off
	scratch_load_b128 v[16:19], off, off offset:920
	scratch_load_b128 v[24:27], off, off offset:952
	;; [unrolled: 1-line block ×3, first 2 shown]
	s_waitcnt vmcnt(3)
	v_mul_f64 v[4:5], v[22:23], v[28:29]
	s_waitcnt vmcnt(2)
	v_mul_f64 v[6:7], v[18:19], v[2:3]
	v_mul_f64 v[8:9], v[18:19], v[0:1]
	s_waitcnt vmcnt(0)
	v_mul_f64 v[10:11], v[26:27], v[32:33]
	v_mul_f64 v[12:13], v[22:23], v[30:31]
	;; [unrolled: 1-line block ×3, first 2 shown]
	v_fma_f64 v[4:5], v[20:21], v[30:31], -v[4:5]
	v_fma_f64 v[0:1], v[16:17], v[0:1], v[6:7]
	v_fma_f64 v[2:3], v[16:17], v[2:3], -v[8:9]
	v_fma_f64 v[6:7], v[24:25], v[34:35], -v[10:11]
	v_fma_f64 v[8:9], v[20:21], v[28:29], v[12:13]
	v_fma_f64 v[10:11], v[24:25], v[32:33], v[14:15]
	v_add_f64 v[12:13], v[78:79], -v[4:5]
	s_delay_alu instid0(VALU_DEP_4) | instskip(NEXT) | instid1(VALU_DEP_4)
	v_add_f64 v[14:15], v[2:3], -v[6:7]
	v_add_f64 v[8:9], v[76:77], -v[8:9]
	s_delay_alu instid0(VALU_DEP_4) | instskip(NEXT) | instid1(VALU_DEP_4)
	v_add_f64 v[4:5], v[0:1], -v[10:11]
	v_fma_f64 v[16:17], v[78:79], 2.0, -v[12:13]
	s_delay_alu instid0(VALU_DEP_4) | instskip(NEXT) | instid1(VALU_DEP_4)
	v_fma_f64 v[6:7], v[2:3], 2.0, -v[14:15]
	v_fma_f64 v[18:19], v[76:77], 2.0, -v[8:9]
	s_delay_alu instid0(VALU_DEP_4) | instskip(SKIP_1) | instid1(VALU_DEP_4)
	v_fma_f64 v[0:1], v[0:1], 2.0, -v[4:5]
	v_add_f64 v[2:3], v[12:13], -v[4:5]
	v_add_f64 v[6:7], v[16:17], -v[6:7]
	s_delay_alu instid0(VALU_DEP_3) | instskip(SKIP_1) | instid1(VALU_DEP_4)
	v_add_f64 v[4:5], v[18:19], -v[0:1]
	v_add_f64 v[0:1], v[8:9], v[14:15]
	v_fma_f64 v[10:11], v[12:13], 2.0, -v[2:3]
	s_delay_alu instid0(VALU_DEP_4) | instskip(NEXT) | instid1(VALU_DEP_4)
	v_fma_f64 v[14:15], v[16:17], 2.0, -v[6:7]
	v_fma_f64 v[12:13], v[18:19], 2.0, -v[4:5]
	s_delay_alu instid0(VALU_DEP_4)
	v_fma_f64 v[8:9], v[8:9], 2.0, -v[0:1]
	ds_store_b128 v234, v[12:15] offset:4992
	ds_store_b128 v234, v[8:11] offset:10400
	;; [unrolled: 1-line block ×4, first 2 shown]
.LBB0_11:
	s_or_b32 exec_lo, exec_lo, s0
	s_waitcnt lgkmcnt(0)
	s_waitcnt_vscnt null, 0x0
	s_barrier
	buffer_gl0_inv
	ds_load_b128 v[0:3], v234
	ds_load_b128 v[4:7], v234 offset:10816
	ds_load_b128 v[8:11], v234 offset:832
	s_clause 0x2
	scratch_load_b128 v[99:102], off, off offset:36
	scratch_load_b32 v116, off, off offset:148
	scratch_load_b32 v98, off, off offset:32
	ds_load_b128 v[14:17], v234 offset:9984
	ds_load_b128 v[18:21], v234 offset:11648
	ds_load_b128 v[22:25], v234 offset:1664
	ds_load_b128 v[30:33], v234 offset:2496
	ds_load_b128 v[26:29], v234 offset:12480
	v_mad_u64_u32 v[12:13], null, s6, v251, 0
	s_mov_b32 s0, 0x7ab2bedd
	s_mov_b32 s1, 0x3f483c97
	s_mul_i32 s6, s5, 0x2a40
	s_mul_hi_u32 s8, s4, 0x2a40
	s_mul_i32 s2, s4, 0x2a40
	s_add_i32 s6, s8, s6
	s_mul_hi_u32 s10, s4, 0xffffd900
	s_mul_i32 s9, s5, 0xffffd900
	s_mul_i32 s3, s4, 0xffffd900
	s_waitcnt vmcnt(2) lgkmcnt(7)
	v_mul_f64 v[66:67], v[101:102], v[2:3]
	v_mul_f64 v[68:69], v[101:102], v[0:1]
	scratch_load_b128 v[101:104], off, off offset:52 ; 16-byte Folded Reload
	s_waitcnt vmcnt(1)
	v_mad_u64_u32 v[78:79], null, s4, v98, 0
	v_mad_u64_u32 v[80:81], null, s4, v116, 0
	v_fma_f64 v[0:1], v[99:100], v[0:1], v[66:67]
	v_fma_f64 v[2:3], v[99:100], v[2:3], -v[68:69]
	s_waitcnt lgkmcnt(4)
	v_mad_u64_u32 v[67:68], null, s7, v251, v[13:14]
	v_mov_b32_e32 v66, v79
	s_sub_i32 s7, s10, s4
	s_delay_alu instid0(SALU_CYCLE_1) | instskip(NEXT) | instid1(VALU_DEP_1)
	s_add_i32 s7, s7, s9
	v_mad_u64_u32 v[68:69], null, s5, v98, v[66:67]
	v_mov_b32_e32 v13, v67
	s_delay_alu instid0(VALU_DEP_1) | instskip(NEXT) | instid1(VALU_DEP_3)
	v_lshlrev_b64 v[12:13], 4, v[12:13]
	v_mov_b32_e32 v79, v68
	v_mul_f64 v[0:1], v[0:1], s[0:1]
	v_mul_f64 v[2:3], v[2:3], s[0:1]
	s_waitcnt vmcnt(0)
	v_mul_f64 v[70:71], v[103:104], v[6:7]
	v_mul_f64 v[72:73], v[103:104], v[4:5]
	scratch_load_b128 v[103:106], off, off offset:100 ; 16-byte Folded Reload
	ds_load_b128 v[34:37], v234 offset:13312
	ds_load_b128 v[38:41], v234 offset:14144
	;; [unrolled: 1-line block ×8, first 2 shown]
	scratch_load_b128 v[117:120], off, off offset:152 ; 16-byte Folded Reload
	v_fma_f64 v[4:5], v[101:102], v[4:5], v[70:71]
	v_fma_f64 v[6:7], v[101:102], v[6:7], -v[72:73]
	s_delay_alu instid0(VALU_DEP_2) | instskip(NEXT) | instid1(VALU_DEP_2)
	v_mul_f64 v[4:5], v[4:5], s[0:1]
	v_mul_f64 v[6:7], v[6:7], s[0:1]
	s_waitcnt vmcnt(1)
	v_mul_f64 v[74:75], v[105:106], v[10:11]
	v_mul_f64 v[76:77], v[105:106], v[8:9]
	scratch_load_b128 v[106:109], off, off offset:68 ; 16-byte Folded Reload
	s_waitcnt vmcnt(1) lgkmcnt(7)
	v_mul_f64 v[69:70], v[119:120], v[36:37]
	v_mul_f64 v[71:72], v[119:120], v[34:35]
	scratch_load_b128 v[119:122], off, off offset:168 ; 16-byte Folded Reload
	v_fma_f64 v[8:9], v[103:104], v[8:9], v[74:75]
	v_fma_f64 v[10:11], v[103:104], v[10:11], -v[76:77]
	v_lshlrev_b64 v[77:78], 4, v[78:79]
	v_add_co_u32 v104, vcc_lo, s12, v12
	v_add_co_ci_u32_e32 v105, vcc_lo, s13, v13, vcc_lo
	v_fma_f64 v[34:35], v[117:118], v[34:35], v[69:70]
	s_delay_alu instid0(VALU_DEP_3) | instskip(NEXT) | instid1(VALU_DEP_3)
	v_add_co_u32 v77, vcc_lo, v104, v77
	v_add_co_ci_u32_e32 v78, vcc_lo, v105, v78, vcc_lo
	v_fma_f64 v[36:37], v[117:118], v[36:37], -v[71:72]
	v_mul_f64 v[8:9], v[8:9], s[0:1]
	v_mul_f64 v[10:11], v[10:11], s[0:1]
	s_waitcnt vmcnt(1)
	v_mul_f64 v[82:83], v[108:109], v[20:21]
	v_mul_f64 v[84:85], v[108:109], v[18:19]
	scratch_load_b128 v[108:111], off, off offset:84 ; 16-byte Folded Reload
	s_waitcnt vmcnt(1) lgkmcnt(5)
	v_mul_f64 v[66:67], v[121:122], v[44:45]
	v_mul_f64 v[73:74], v[121:122], v[42:43]
	scratch_load_b128 v[121:124], off, off offset:184 ; 16-byte Folded Reload
	v_fma_f64 v[12:13], v[106:107], v[18:19], v[82:83]
	v_fma_f64 v[20:21], v[106:107], v[20:21], -v[84:85]
	v_add_co_u32 v84, vcc_lo, v77, s2
	v_add_co_ci_u32_e32 v85, vcc_lo, s6, v78, vcc_lo
	v_fma_f64 v[44:45], v[119:120], v[44:45], -v[73:74]
	v_fma_f64 v[42:43], v[119:120], v[42:43], v[66:67]
	v_mul_f64 v[18:19], v[12:13], s[0:1]
	v_mul_f64 v[20:21], v[20:21], s[0:1]
	s_waitcnt vmcnt(1)
	v_mul_f64 v[86:87], v[110:111], v[24:25]
	v_mul_f64 v[88:89], v[110:111], v[22:23]
	scratch_load_b128 v[110:113], off, off offset:116 ; 16-byte Folded Reload
	s_waitcnt vmcnt(1)
	v_mul_f64 v[75:76], v[123:124], v[40:41]
	v_mul_f64 v[98:99], v[123:124], v[38:39]
	scratch_load_b128 v[123:126], off, off offset:248 ; 16-byte Folded Reload
	v_fma_f64 v[22:23], v[108:109], v[22:23], v[86:87]
	v_fma_f64 v[24:25], v[108:109], v[24:25], -v[88:89]
	v_add_co_u32 v88, vcc_lo, v84, s3
	v_add_co_ci_u32_e32 v89, vcc_lo, s7, v85, vcc_lo
	v_fma_f64 v[38:39], v[121:122], v[38:39], v[75:76]
	v_fma_f64 v[40:41], v[121:122], v[40:41], -v[98:99]
	s_delay_alu instid0(VALU_DEP_4) | instskip(NEXT) | instid1(VALU_DEP_4)
	v_add_co_u32 v68, vcc_lo, v88, s2
	v_add_co_ci_u32_e32 v69, vcc_lo, s6, v89, vcc_lo
	s_delay_alu instid0(VALU_DEP_2) | instskip(NEXT) | instid1(VALU_DEP_2)
	v_add_co_u32 v66, vcc_lo, v68, s3
	v_add_co_ci_u32_e32 v67, vcc_lo, s7, v69, vcc_lo
	s_delay_alu instid0(VALU_DEP_2) | instskip(NEXT) | instid1(VALU_DEP_2)
	;; [unrolled: 3-line block ×3, first 2 shown]
	v_add_co_u32 v74, vcc_lo, v12, s3
	v_add_co_ci_u32_e32 v75, vcc_lo, s7, v13, vcc_lo
	v_mul_f64 v[22:23], v[22:23], s[0:1]
	v_mul_f64 v[24:25], v[24:25], s[0:1]
	s_waitcnt vmcnt(1)
	v_mul_f64 v[90:91], v[112:113], v[28:29]
	v_mul_f64 v[92:93], v[112:113], v[26:27]
	scratch_load_b128 v[112:115], off, off offset:132 ; 16-byte Folded Reload
	s_waitcnt vmcnt(1) lgkmcnt(4)
	v_mul_f64 v[100:101], v[125:126], v[48:49]
	v_mul_f64 v[102:103], v[125:126], v[46:47]
	v_fma_f64 v[26:27], v[110:111], v[26:27], v[90:91]
	v_fma_f64 v[28:29], v[110:111], v[28:29], -v[92:93]
	scratch_load_b128 v[90:93], off, off offset:200 ; 16-byte Folded Reload
	s_clause 0x2
	global_store_b128 v[77:78], v[0:3], off
	global_store_b128 v[84:85], v[4:7], off
	;; [unrolled: 1-line block ×3, first 2 shown]
	v_mov_b32_e32 v0, v81
	v_mul_f64 v[2:3], v[36:37], s[0:1]
	v_mul_f64 v[6:7], v[44:45], s[0:1]
	;; [unrolled: 1-line block ×4, first 2 shown]
	v_mad_u64_u32 v[4:5], null, s5, v116, v[0:1]
	v_mul_f64 v[0:1], v[34:35], s[0:1]
	s_clause 0x1
	global_store_b128 v[68:69], v[18:21], off
	global_store_b128 v[66:67], v[22:25], off
	v_fma_f64 v[46:47], v[123:124], v[46:47], v[100:101]
	v_fma_f64 v[48:49], v[123:124], v[48:49], -v[102:103]
	v_mov_b32_e32 v81, v4
	v_mul_f64 v[4:5], v[42:43], s[0:1]
	v_mad_u64_u32 v[42:43], null, 0x340, s4, v[74:75]
	s_delay_alu instid0(VALU_DEP_1) | instskip(NEXT) | instid1(VALU_DEP_4)
	v_mov_b32_e32 v18, v43
	v_lshlrev_b64 v[19:20], 4, v[80:81]
	s_delay_alu instid0(VALU_DEP_1) | instskip(SKIP_2) | instid1(VALU_DEP_3)
	v_mad_u64_u32 v[21:22], null, 0x340, s5, v[18:19]
	v_mul_f64 v[26:27], v[26:27], s[0:1]
	v_mul_f64 v[28:29], v[28:29], s[0:1]
	v_mov_b32_e32 v43, v21
	v_mul_f64 v[34:35], v[46:47], s[0:1]
	v_mul_f64 v[36:37], v[48:49], s[0:1]
	s_waitcnt vmcnt(1)
	v_mul_f64 v[94:95], v[114:115], v[32:33]
	v_mul_f64 v[96:97], v[114:115], v[30:31]
	s_delay_alu instid0(VALU_DEP_2)
	v_fma_f64 v[30:31], v[112:113], v[30:31], v[94:95]
	s_waitcnt vmcnt(0) lgkmcnt(3)
	v_mul_f64 v[82:83], v[92:93], v[52:53]
	v_mul_f64 v[86:87], v[92:93], v[50:51]
	scratch_load_b128 v[92:95], off, off offset:216 ; 16-byte Folded Reload
	v_fma_f64 v[32:33], v[112:113], v[32:33], -v[96:97]
	v_mul_f64 v[30:31], v[30:31], s[0:1]
	v_fma_f64 v[38:39], v[90:91], v[50:51], v[82:83]
	v_fma_f64 v[40:41], v[90:91], v[52:53], -v[86:87]
	s_delay_alu instid0(VALU_DEP_4)
	v_mul_f64 v[32:33], v[32:33], s[0:1]
	s_waitcnt vmcnt(0) lgkmcnt(1)
	v_mul_f64 v[70:71], v[94:95], v[60:61]
	v_mul_f64 v[72:73], v[94:95], v[58:59]
	scratch_load_b128 v[94:97], off, off offset:232 ; 16-byte Folded Reload
	v_fma_f64 v[46:47], v[92:93], v[58:59], v[70:71]
	v_fma_f64 v[48:49], v[92:93], v[60:61], -v[72:73]
	s_delay_alu instid0(VALU_DEP_2) | instskip(NEXT) | instid1(VALU_DEP_2)
	v_mul_f64 v[46:47], v[46:47], s[0:1]
	v_mul_f64 v[48:49], v[48:49], s[0:1]
	s_waitcnt vmcnt(0)
	v_mul_f64 v[76:77], v[96:97], v[56:57]
	v_mul_f64 v[78:79], v[96:97], v[54:55]
	scratch_load_b128 v[96:99], off, off offset:264 ; 16-byte Folded Reload
	global_store_b128 v[12:13], v[26:29], off
	global_store_b128 v[74:75], v[30:33], off
	v_add_co_u32 v12, vcc_lo, v104, v19
	v_add_co_ci_u32_e32 v13, vcc_lo, v105, v20, vcc_lo
	v_add_co_u32 v30, vcc_lo, v42, s2
	v_add_co_ci_u32_e32 v31, vcc_lo, s6, v43, vcc_lo
	ds_load_b128 v[18:21], v234 offset:16640
	ds_load_b128 v[22:25], v234 offset:6656
	v_add_co_u32 v50, vcc_lo, v30, s3
	v_add_co_ci_u32_e32 v51, vcc_lo, s7, v31, vcc_lo
	ds_load_b128 v[26:29], v234 offset:17472
	global_store_b128 v[12:13], v[0:3], off
	global_store_b128 v[42:43], v[4:7], off
	;; [unrolled: 1-line block ×4, first 2 shown]
	scratch_load_b128 v[106:109], off, off offset:280 ; 16-byte Folded Reload
	v_mul_f64 v[0:1], v[38:39], s[0:1]
	ds_load_b128 v[4:7], v234 offset:7488
	ds_load_b128 v[30:33], v234 offset:8320
	;; [unrolled: 1-line block ×3, first 2 shown]
	v_mul_f64 v[2:3], v[40:41], s[0:1]
	v_add_co_u32 v72, vcc_lo, v50, s2
	v_add_co_ci_u32_e32 v73, vcc_lo, s6, v51, vcc_lo
	v_fma_f64 v[54:55], v[94:95], v[54:55], v[76:77]
	v_fma_f64 v[56:57], v[94:95], v[56:57], -v[78:79]
	s_delay_alu instid0(VALU_DEP_2) | instskip(NEXT) | instid1(VALU_DEP_2)
	v_mul_f64 v[54:55], v[54:55], s[0:1]
	v_mul_f64 v[56:57], v[56:57], s[0:1]
	s_waitcnt vmcnt(1) lgkmcnt(6)
	v_mul_f64 v[84:85], v[98:99], v[64:65]
	v_mul_f64 v[88:89], v[98:99], v[62:63]
	s_waitcnt vmcnt(0) lgkmcnt(5)
	v_mul_f64 v[12:13], v[108:109], v[20:21]
	s_delay_alu instid0(VALU_DEP_3)
	v_fma_f64 v[58:59], v[96:97], v[62:63], v[84:85]
	v_mul_f64 v[62:63], v[108:109], v[18:19]
	scratch_load_b128 v[108:111], off, off offset:296 ; 16-byte Folded Reload
	v_fma_f64 v[60:61], v[96:97], v[64:65], -v[88:89]
	v_fma_f64 v[12:13], v[106:107], v[18:19], v[12:13]
	v_mul_f64 v[58:59], v[58:59], s[0:1]
	v_fma_f64 v[18:19], v[106:107], v[20:21], -v[62:63]
	v_add_co_u32 v20, vcc_lo, v72, s3
	v_mul_f64 v[60:61], v[60:61], s[0:1]
	v_add_co_ci_u32_e32 v21, vcc_lo, s7, v73, vcc_lo
	s_delay_alu instid0(VALU_DEP_3) | instskip(NEXT) | instid1(VALU_DEP_2)
	v_add_co_u32 v62, vcc_lo, v20, s2
	v_add_co_ci_u32_e32 v63, vcc_lo, s6, v21, vcc_lo
	s_waitcnt vmcnt(0) lgkmcnt(4)
	v_mul_f64 v[64:65], v[110:111], v[24:25]
	v_mul_f64 v[66:67], v[110:111], v[22:23]
	scratch_load_b128 v[110:113], off, off offset:312 ; 16-byte Folded Reload
	ds_load_b128 v[34:37], v234 offset:19136
	ds_load_b128 v[38:41], v234 offset:9152
	ds_load_b128 v[42:45], v234 offset:19968
	ds_load_b128 v[50:53], v234 offset:20800
	v_fma_f64 v[22:23], v[108:109], v[22:23], v[64:65]
	v_fma_f64 v[24:25], v[108:109], v[24:25], -v[66:67]
	v_add_co_u32 v64, vcc_lo, v62, s3
	v_add_co_ci_u32_e32 v65, vcc_lo, s7, v63, vcc_lo
	s_waitcnt vmcnt(0) lgkmcnt(7)
	v_mul_f64 v[68:69], v[112:113], v[28:29]
	v_mul_f64 v[70:71], v[112:113], v[26:27]
	scratch_load_b128 v[112:115], off, off offset:328 ; 16-byte Folded Reload
	v_fma_f64 v[26:27], v[110:111], v[26:27], v[68:69]
	v_fma_f64 v[28:29], v[110:111], v[28:29], -v[70:71]
	s_waitcnt vmcnt(0) lgkmcnt(6)
	v_mul_f64 v[74:75], v[114:115], v[6:7]
	v_mul_f64 v[76:77], v[114:115], v[4:5]
	scratch_load_b128 v[114:117], off, off offset:344 ; 16-byte Folded Reload
	v_fma_f64 v[66:67], v[112:113], v[4:5], v[74:75]
	v_fma_f64 v[68:69], v[112:113], v[6:7], -v[76:77]
	v_mul_f64 v[4:5], v[22:23], s[0:1]
	v_mul_f64 v[6:7], v[24:25], s[0:1]
	s_waitcnt vmcnt(0) lgkmcnt(4)
	v_mul_f64 v[78:79], v[116:117], v[10:11]
	v_mul_f64 v[80:81], v[116:117], v[8:9]
	scratch_load_b128 v[116:119], off, off offset:360 ; 16-byte Folded Reload
	v_fma_f64 v[70:71], v[114:115], v[8:9], v[78:79]
	v_fma_f64 v[74:75], v[114:115], v[10:11], -v[80:81]
	v_mul_f64 v[8:9], v[26:27], s[0:1]
	v_mul_f64 v[10:11], v[28:29], s[0:1]
	s_waitcnt vmcnt(0)
	v_mul_f64 v[82:83], v[118:119], v[32:33]
	v_mul_f64 v[84:85], v[118:119], v[30:31]
	scratch_load_b128 v[118:121], off, off offset:376 ; 16-byte Folded Reload
	s_waitcnt vmcnt(0) lgkmcnt(3)
	v_mul_f64 v[86:87], v[120:121], v[36:37]
	v_mul_f64 v[88:89], v[120:121], v[34:35]
	scratch_load_b128 v[120:123], off, off offset:392 ; 16-byte Folded Reload
	s_waitcnt vmcnt(0) lgkmcnt(2)
	;; [unrolled: 4-line block ×3, first 2 shown]
	v_mul_f64 v[94:95], v[124:125], v[44:45]
	v_mul_f64 v[96:97], v[124:125], v[42:43]
	scratch_load_b128 v[124:127], off, off offset:424 ; 16-byte Folded Reload
	s_waitcnt vmcnt(0)
	v_mul_f64 v[98:99], v[126:127], v[16:17]
	v_mul_f64 v[100:101], v[126:127], v[14:15]
	scratch_load_b128 v[126:129], off, off offset:440 ; 16-byte Folded Reload
	global_store_b128 v[72:73], v[0:3], off
	global_store_b128 v[20:21], v[46:49], off
	;; [unrolled: 1-line block ×4, first 2 shown]
	v_fma_f64 v[20:21], v[116:117], v[30:31], v[82:83]
	v_fma_f64 v[30:31], v[116:117], v[32:33], -v[84:85]
	v_fma_f64 v[32:33], v[118:119], v[34:35], v[86:87]
	v_fma_f64 v[34:35], v[118:119], v[36:37], -v[88:89]
	;; [unrolled: 2-line block ×4, first 2 shown]
	v_mul_f64 v[0:1], v[12:13], s[0:1]
	v_mul_f64 v[2:3], v[18:19], s[0:1]
	;; [unrolled: 1-line block ×4, first 2 shown]
	v_fma_f64 v[44:45], v[124:125], v[14:15], v[98:99]
	v_fma_f64 v[46:47], v[124:125], v[16:17], -v[100:101]
	v_mul_f64 v[14:15], v[68:69], s[0:1]
	v_mul_f64 v[16:17], v[70:71], s[0:1]
	;; [unrolled: 1-line block ×12, first 2 shown]
	s_waitcnt vmcnt(0) lgkmcnt(0)
	v_mul_f64 v[102:103], v[128:129], v[52:53]
	v_mul_f64 v[104:105], v[128:129], v[50:51]
	s_delay_alu instid0(VALU_DEP_2) | instskip(NEXT) | instid1(VALU_DEP_2)
	v_fma_f64 v[48:49], v[126:127], v[50:51], v[102:103]
	v_fma_f64 v[50:51], v[126:127], v[52:53], -v[104:105]
	v_add_co_u32 v52, vcc_lo, v64, s2
	v_add_co_ci_u32_e32 v53, vcc_lo, s6, v65, vcc_lo
	s_delay_alu instid0(VALU_DEP_2) | instskip(NEXT) | instid1(VALU_DEP_2)
	v_add_co_u32 v54, vcc_lo, v52, s3
	v_add_co_ci_u32_e32 v55, vcc_lo, s7, v53, vcc_lo
	global_store_b128 v[52:53], v[0:3], off
	v_add_co_u32 v56, vcc_lo, v54, s2
	v_add_co_ci_u32_e32 v57, vcc_lo, s6, v55, vcc_lo
	global_store_b128 v[54:55], v[4:7], off
	;; [unrolled: 3-line block ×6, first 2 shown]
	v_add_co_u32 v4, vcc_lo, v2, s3
	v_mul_f64 v[40:41], v[48:49], s[0:1]
	v_mul_f64 v[42:43], v[50:51], s[0:1]
	v_add_co_ci_u32_e32 v5, vcc_lo, s7, v3, vcc_lo
	s_delay_alu instid0(VALU_DEP_4) | instskip(NEXT) | instid1(VALU_DEP_2)
	v_add_co_u32 v6, vcc_lo, v4, s2
	v_add_co_ci_u32_e32 v7, vcc_lo, s6, v5, vcc_lo
	s_delay_alu instid0(VALU_DEP_2) | instskip(NEXT) | instid1(VALU_DEP_2)
	v_add_co_u32 v8, vcc_lo, v6, s3
	v_add_co_ci_u32_e32 v9, vcc_lo, s7, v7, vcc_lo
	s_delay_alu instid0(VALU_DEP_2) | instskip(NEXT) | instid1(VALU_DEP_2)
	v_add_co_u32 v0, vcc_lo, v8, s2
	v_add_co_ci_u32_e32 v1, vcc_lo, s6, v9, vcc_lo
	global_store_b128 v[2:3], v[24:27], off
	global_store_b128 v[4:5], v[28:31], off
	;; [unrolled: 1-line block ×5, first 2 shown]
.LBB0_12:
	s_nop 0
	s_sendmsg sendmsg(MSG_DEALLOC_VGPRS)
	s_endpgm
	.section	.rodata,"a",@progbits
	.p2align	6, 0x0
	.amdhsa_kernel bluestein_single_fwd_len1352_dim1_dp_op_CI_CI
		.amdhsa_group_segment_fixed_size 21632
		.amdhsa_private_segment_fixed_size 972
		.amdhsa_kernarg_size 104
		.amdhsa_user_sgpr_count 15
		.amdhsa_user_sgpr_dispatch_ptr 0
		.amdhsa_user_sgpr_queue_ptr 0
		.amdhsa_user_sgpr_kernarg_segment_ptr 1
		.amdhsa_user_sgpr_dispatch_id 0
		.amdhsa_user_sgpr_private_segment_size 0
		.amdhsa_wavefront_size32 1
		.amdhsa_uses_dynamic_stack 0
		.amdhsa_enable_private_segment 1
		.amdhsa_system_sgpr_workgroup_id_x 1
		.amdhsa_system_sgpr_workgroup_id_y 0
		.amdhsa_system_sgpr_workgroup_id_z 0
		.amdhsa_system_sgpr_workgroup_info 0
		.amdhsa_system_vgpr_workitem_id 0
		.amdhsa_next_free_vgpr 256
		.amdhsa_next_free_sgpr 50
		.amdhsa_reserve_vcc 1
		.amdhsa_float_round_mode_32 0
		.amdhsa_float_round_mode_16_64 0
		.amdhsa_float_denorm_mode_32 3
		.amdhsa_float_denorm_mode_16_64 3
		.amdhsa_dx10_clamp 1
		.amdhsa_ieee_mode 1
		.amdhsa_fp16_overflow 0
		.amdhsa_workgroup_processor_mode 1
		.amdhsa_memory_ordered 1
		.amdhsa_forward_progress 0
		.amdhsa_shared_vgpr_count 0
		.amdhsa_exception_fp_ieee_invalid_op 0
		.amdhsa_exception_fp_denorm_src 0
		.amdhsa_exception_fp_ieee_div_zero 0
		.amdhsa_exception_fp_ieee_overflow 0
		.amdhsa_exception_fp_ieee_underflow 0
		.amdhsa_exception_fp_ieee_inexact 0
		.amdhsa_exception_int_div_zero 0
	.end_amdhsa_kernel
	.text
.Lfunc_end0:
	.size	bluestein_single_fwd_len1352_dim1_dp_op_CI_CI, .Lfunc_end0-bluestein_single_fwd_len1352_dim1_dp_op_CI_CI
                                        ; -- End function
	.section	.AMDGPU.csdata,"",@progbits
; Kernel info:
; codeLenInByte = 49928
; NumSgprs: 52
; NumVgprs: 256
; ScratchSize: 972
; MemoryBound: 0
; FloatMode: 240
; IeeeMode: 1
; LDSByteSize: 21632 bytes/workgroup (compile time only)
; SGPRBlocks: 6
; VGPRBlocks: 31
; NumSGPRsForWavesPerEU: 52
; NumVGPRsForWavesPerEU: 256
; Occupancy: 3
; WaveLimiterHint : 1
; COMPUTE_PGM_RSRC2:SCRATCH_EN: 1
; COMPUTE_PGM_RSRC2:USER_SGPR: 15
; COMPUTE_PGM_RSRC2:TRAP_HANDLER: 0
; COMPUTE_PGM_RSRC2:TGID_X_EN: 1
; COMPUTE_PGM_RSRC2:TGID_Y_EN: 0
; COMPUTE_PGM_RSRC2:TGID_Z_EN: 0
; COMPUTE_PGM_RSRC2:TIDIG_COMP_CNT: 0
	.text
	.p2alignl 7, 3214868480
	.fill 96, 4, 3214868480
	.type	__hip_cuid_ff5a48606f586caa,@object ; @__hip_cuid_ff5a48606f586caa
	.section	.bss,"aw",@nobits
	.globl	__hip_cuid_ff5a48606f586caa
__hip_cuid_ff5a48606f586caa:
	.byte	0                               ; 0x0
	.size	__hip_cuid_ff5a48606f586caa, 1

	.ident	"AMD clang version 19.0.0git (https://github.com/RadeonOpenCompute/llvm-project roc-6.4.0 25133 c7fe45cf4b819c5991fe208aaa96edf142730f1d)"
	.section	".note.GNU-stack","",@progbits
	.addrsig
	.addrsig_sym __hip_cuid_ff5a48606f586caa
	.amdgpu_metadata
---
amdhsa.kernels:
  - .args:
      - .actual_access:  read_only
        .address_space:  global
        .offset:         0
        .size:           8
        .value_kind:     global_buffer
      - .actual_access:  read_only
        .address_space:  global
        .offset:         8
        .size:           8
        .value_kind:     global_buffer
      - .actual_access:  read_only
        .address_space:  global
        .offset:         16
        .size:           8
        .value_kind:     global_buffer
      - .actual_access:  read_only
        .address_space:  global
        .offset:         24
        .size:           8
        .value_kind:     global_buffer
      - .actual_access:  read_only
        .address_space:  global
        .offset:         32
        .size:           8
        .value_kind:     global_buffer
      - .offset:         40
        .size:           8
        .value_kind:     by_value
      - .address_space:  global
        .offset:         48
        .size:           8
        .value_kind:     global_buffer
      - .address_space:  global
        .offset:         56
        .size:           8
        .value_kind:     global_buffer
      - .address_space:  global
        .offset:         64
        .size:           8
        .value_kind:     global_buffer
      - .address_space:  global
        .offset:         72
        .size:           8
        .value_kind:     global_buffer
      - .offset:         80
        .size:           4
        .value_kind:     by_value
      - .address_space:  global
        .offset:         88
        .size:           8
        .value_kind:     global_buffer
      - .address_space:  global
        .offset:         96
        .size:           8
        .value_kind:     global_buffer
    .group_segment_fixed_size: 21632
    .kernarg_segment_align: 8
    .kernarg_segment_size: 104
    .language:       OpenCL C
    .language_version:
      - 2
      - 0
    .max_flat_workgroup_size: 52
    .name:           bluestein_single_fwd_len1352_dim1_dp_op_CI_CI
    .private_segment_fixed_size: 972
    .sgpr_count:     52
    .sgpr_spill_count: 0
    .symbol:         bluestein_single_fwd_len1352_dim1_dp_op_CI_CI.kd
    .uniform_work_group_size: 1
    .uses_dynamic_stack: false
    .vgpr_count:     256
    .vgpr_spill_count: 250
    .wavefront_size: 32
    .workgroup_processor_mode: 1
amdhsa.target:   amdgcn-amd-amdhsa--gfx1100
amdhsa.version:
  - 1
  - 2
...

	.end_amdgpu_metadata
